;; amdgpu-corpus repo=ROCm/rocFFT kind=compiled arch=gfx1030 opt=O3
	.text
	.amdgcn_target "amdgcn-amd-amdhsa--gfx1030"
	.amdhsa_code_object_version 6
	.protected	fft_rtc_fwd_len1360_factors_17_5_16_wgs_255_tpt_85_halfLds_half_op_CI_CI_unitstride_sbrr_C2R_dirReg ; -- Begin function fft_rtc_fwd_len1360_factors_17_5_16_wgs_255_tpt_85_halfLds_half_op_CI_CI_unitstride_sbrr_C2R_dirReg
	.globl	fft_rtc_fwd_len1360_factors_17_5_16_wgs_255_tpt_85_halfLds_half_op_CI_CI_unitstride_sbrr_C2R_dirReg
	.p2align	8
	.type	fft_rtc_fwd_len1360_factors_17_5_16_wgs_255_tpt_85_halfLds_half_op_CI_CI_unitstride_sbrr_C2R_dirReg,@function
fft_rtc_fwd_len1360_factors_17_5_16_wgs_255_tpt_85_halfLds_half_op_CI_CI_unitstride_sbrr_C2R_dirReg: ; @fft_rtc_fwd_len1360_factors_17_5_16_wgs_255_tpt_85_halfLds_half_op_CI_CI_unitstride_sbrr_C2R_dirReg
; %bb.0:
	s_load_dwordx4 s[12:15], s[4:5], 0x0
	v_mul_u32_u24_e32 v1, 0x304, v0
	s_clause 0x1
	s_load_dwordx4 s[8:11], s[4:5], 0x58
	s_load_dwordx4 s[16:19], s[4:5], 0x18
	v_mov_b32_e32 v9, 0
	v_mov_b32_e32 v7, 0
	;; [unrolled: 1-line block ×3, first 2 shown]
	v_lshrrev_b32_e32 v1, 16, v1
	v_mad_u64_u32 v[3:4], null, s6, 3, v[1:2]
	v_mov_b32_e32 v4, v9
	v_mov_b32_e32 v1, v7
	;; [unrolled: 1-line block ×5, first 2 shown]
	s_waitcnt lgkmcnt(0)
	v_cmp_lt_u64_e64 s0, s[14:15], 2
	s_and_b32 vcc_lo, exec_lo, s0
	s_cbranch_vccnz .LBB0_8
; %bb.1:
	s_load_dwordx2 s[0:1], s[4:5], 0x10
	v_mov_b32_e32 v7, 0
	v_mov_b32_e32 v8, 0
	s_add_u32 s2, s18, 8
	v_mov_b32_e32 v12, v4
	s_addc_u32 s3, s19, 0
	v_mov_b32_e32 v1, v7
	v_mov_b32_e32 v11, v3
	s_add_u32 s6, s16, 8
	v_mov_b32_e32 v2, v8
	s_addc_u32 s7, s17, 0
	s_mov_b64 s[22:23], 1
	s_waitcnt lgkmcnt(0)
	s_add_u32 s20, s0, 8
	s_addc_u32 s21, s1, 0
.LBB0_2:                                ; =>This Inner Loop Header: Depth=1
	s_load_dwordx2 s[24:25], s[20:21], 0x0
                                        ; implicit-def: $vgpr5_vgpr6
	s_mov_b32 s0, exec_lo
	s_waitcnt lgkmcnt(0)
	v_or_b32_e32 v10, s25, v12
	v_cmpx_ne_u64_e32 0, v[9:10]
	s_xor_b32 s1, exec_lo, s0
	s_cbranch_execz .LBB0_4
; %bb.3:                                ;   in Loop: Header=BB0_2 Depth=1
	v_cvt_f32_u32_e32 v4, s24
	v_cvt_f32_u32_e32 v5, s25
	s_sub_u32 s0, 0, s24
	s_subb_u32 s26, 0, s25
	v_fmac_f32_e32 v4, 0x4f800000, v5
	v_rcp_f32_e32 v4, v4
	v_mul_f32_e32 v4, 0x5f7ffffc, v4
	v_mul_f32_e32 v5, 0x2f800000, v4
	v_trunc_f32_e32 v5, v5
	v_fmac_f32_e32 v4, 0xcf800000, v5
	v_cvt_u32_f32_e32 v5, v5
	v_cvt_u32_f32_e32 v4, v4
	v_mul_lo_u32 v6, s0, v5
	v_mul_hi_u32 v10, s0, v4
	v_mul_lo_u32 v13, s26, v4
	v_add_nc_u32_e32 v6, v10, v6
	v_mul_lo_u32 v10, s0, v4
	v_add_nc_u32_e32 v6, v6, v13
	v_mul_hi_u32 v13, v4, v10
	v_mul_lo_u32 v14, v4, v6
	v_mul_hi_u32 v15, v4, v6
	v_mul_hi_u32 v16, v5, v10
	v_mul_lo_u32 v10, v5, v10
	v_mul_hi_u32 v17, v5, v6
	v_mul_lo_u32 v6, v5, v6
	v_add_co_u32 v13, vcc_lo, v13, v14
	v_add_co_ci_u32_e32 v14, vcc_lo, 0, v15, vcc_lo
	v_add_co_u32 v10, vcc_lo, v13, v10
	v_add_co_ci_u32_e32 v10, vcc_lo, v14, v16, vcc_lo
	v_add_co_ci_u32_e32 v13, vcc_lo, 0, v17, vcc_lo
	v_add_co_u32 v6, vcc_lo, v10, v6
	v_add_co_ci_u32_e32 v10, vcc_lo, 0, v13, vcc_lo
	v_add_co_u32 v4, vcc_lo, v4, v6
	v_add_co_ci_u32_e32 v5, vcc_lo, v5, v10, vcc_lo
	v_mul_hi_u32 v6, s0, v4
	v_mul_lo_u32 v13, s26, v4
	v_mul_lo_u32 v10, s0, v5
	v_add_nc_u32_e32 v6, v6, v10
	v_mul_lo_u32 v10, s0, v4
	v_add_nc_u32_e32 v6, v6, v13
	v_mul_hi_u32 v13, v4, v10
	v_mul_lo_u32 v14, v4, v6
	v_mul_hi_u32 v15, v4, v6
	v_mul_hi_u32 v16, v5, v10
	v_mul_lo_u32 v10, v5, v10
	v_mul_hi_u32 v17, v5, v6
	v_mul_lo_u32 v6, v5, v6
	v_add_co_u32 v13, vcc_lo, v13, v14
	v_add_co_ci_u32_e32 v14, vcc_lo, 0, v15, vcc_lo
	v_add_co_u32 v10, vcc_lo, v13, v10
	v_add_co_ci_u32_e32 v10, vcc_lo, v14, v16, vcc_lo
	v_add_co_ci_u32_e32 v13, vcc_lo, 0, v17, vcc_lo
	v_add_co_u32 v6, vcc_lo, v10, v6
	v_add_co_ci_u32_e32 v10, vcc_lo, 0, v13, vcc_lo
	v_add_co_u32 v6, vcc_lo, v4, v6
	v_add_co_ci_u32_e32 v10, vcc_lo, v5, v10, vcc_lo
	v_mul_hi_u32 v17, v11, v6
	v_mad_u64_u32 v[13:14], null, v12, v6, 0
	v_mad_u64_u32 v[4:5], null, v11, v10, 0
	;; [unrolled: 1-line block ×3, first 2 shown]
	v_add_co_u32 v4, vcc_lo, v17, v4
	v_add_co_ci_u32_e32 v5, vcc_lo, 0, v5, vcc_lo
	v_add_co_u32 v4, vcc_lo, v4, v13
	v_add_co_ci_u32_e32 v4, vcc_lo, v5, v14, vcc_lo
	v_add_co_ci_u32_e32 v5, vcc_lo, 0, v16, vcc_lo
	v_add_co_u32 v10, vcc_lo, v4, v15
	v_add_co_ci_u32_e32 v6, vcc_lo, 0, v5, vcc_lo
	v_mul_lo_u32 v13, s25, v10
	v_mad_u64_u32 v[4:5], null, s24, v10, 0
	v_mul_lo_u32 v14, s24, v6
	v_sub_co_u32 v4, vcc_lo, v11, v4
	v_add3_u32 v5, v5, v14, v13
	v_sub_nc_u32_e32 v13, v12, v5
	v_subrev_co_ci_u32_e64 v13, s0, s25, v13, vcc_lo
	v_add_co_u32 v14, s0, v10, 2
	v_add_co_ci_u32_e64 v15, s0, 0, v6, s0
	v_sub_co_u32 v16, s0, v4, s24
	v_sub_co_ci_u32_e32 v5, vcc_lo, v12, v5, vcc_lo
	v_subrev_co_ci_u32_e64 v13, s0, 0, v13, s0
	v_cmp_le_u32_e32 vcc_lo, s24, v16
	v_cmp_eq_u32_e64 s0, s25, v5
	v_cndmask_b32_e64 v16, 0, -1, vcc_lo
	v_cmp_le_u32_e32 vcc_lo, s25, v13
	v_cndmask_b32_e64 v17, 0, -1, vcc_lo
	v_cmp_le_u32_e32 vcc_lo, s24, v4
	;; [unrolled: 2-line block ×3, first 2 shown]
	v_cndmask_b32_e64 v18, 0, -1, vcc_lo
	v_cmp_eq_u32_e32 vcc_lo, s25, v13
	v_cndmask_b32_e64 v4, v18, v4, s0
	v_cndmask_b32_e32 v13, v17, v16, vcc_lo
	v_add_co_u32 v16, vcc_lo, v10, 1
	v_add_co_ci_u32_e32 v17, vcc_lo, 0, v6, vcc_lo
	v_cmp_ne_u32_e32 vcc_lo, 0, v13
	v_cndmask_b32_e32 v5, v17, v15, vcc_lo
	v_cndmask_b32_e32 v13, v16, v14, vcc_lo
	v_cmp_ne_u32_e32 vcc_lo, 0, v4
	v_cndmask_b32_e32 v6, v6, v5, vcc_lo
	v_cndmask_b32_e32 v5, v10, v13, vcc_lo
.LBB0_4:                                ;   in Loop: Header=BB0_2 Depth=1
	s_andn2_saveexec_b32 s0, s1
	s_cbranch_execz .LBB0_6
; %bb.5:                                ;   in Loop: Header=BB0_2 Depth=1
	v_cvt_f32_u32_e32 v4, s24
	s_sub_i32 s1, 0, s24
	v_rcp_iflag_f32_e32 v4, v4
	v_mul_f32_e32 v4, 0x4f7ffffe, v4
	v_cvt_u32_f32_e32 v4, v4
	v_mul_lo_u32 v5, s1, v4
	v_mul_hi_u32 v5, v4, v5
	v_add_nc_u32_e32 v4, v4, v5
	v_mul_hi_u32 v4, v11, v4
	v_mul_lo_u32 v5, v4, s24
	v_add_nc_u32_e32 v6, 1, v4
	v_sub_nc_u32_e32 v5, v11, v5
	v_subrev_nc_u32_e32 v10, s24, v5
	v_cmp_le_u32_e32 vcc_lo, s24, v5
	v_cndmask_b32_e32 v5, v5, v10, vcc_lo
	v_cndmask_b32_e32 v4, v4, v6, vcc_lo
	v_cmp_le_u32_e32 vcc_lo, s24, v5
	v_add_nc_u32_e32 v6, 1, v4
	v_cndmask_b32_e32 v5, v4, v6, vcc_lo
	v_mov_b32_e32 v6, v9
.LBB0_6:                                ;   in Loop: Header=BB0_2 Depth=1
	s_or_b32 exec_lo, exec_lo, s0
	v_mul_lo_u32 v4, v6, s24
	v_mul_lo_u32 v10, v5, s25
	s_load_dwordx2 s[0:1], s[6:7], 0x0
	v_mad_u64_u32 v[13:14], null, v5, s24, 0
	s_load_dwordx2 s[24:25], s[2:3], 0x0
	s_add_u32 s22, s22, 1
	s_addc_u32 s23, s23, 0
	s_add_u32 s2, s2, 8
	s_addc_u32 s3, s3, 0
	s_add_u32 s6, s6, 8
	v_add3_u32 v4, v14, v10, v4
	v_sub_co_u32 v10, vcc_lo, v11, v13
	s_addc_u32 s7, s7, 0
	s_add_u32 s20, s20, 8
	v_sub_co_ci_u32_e32 v4, vcc_lo, v12, v4, vcc_lo
	s_addc_u32 s21, s21, 0
	s_waitcnt lgkmcnt(0)
	v_mul_lo_u32 v11, s0, v4
	v_mul_lo_u32 v12, s1, v10
	v_mad_u64_u32 v[7:8], null, s0, v10, v[7:8]
	v_mul_lo_u32 v4, s24, v4
	v_mul_lo_u32 v13, s25, v10
	v_mad_u64_u32 v[1:2], null, s24, v10, v[1:2]
	v_cmp_ge_u64_e64 s0, s[22:23], s[14:15]
	v_add3_u32 v8, v12, v8, v11
	v_add3_u32 v2, v13, v2, v4
	s_and_b32 vcc_lo, exec_lo, s0
	s_cbranch_vccnz .LBB0_8
; %bb.7:                                ;   in Loop: Header=BB0_2 Depth=1
	v_mov_b32_e32 v12, v6
	v_mov_b32_e32 v11, v5
	s_branch .LBB0_2
.LBB0_8:
	s_load_dwordx2 s[0:1], s[4:5], 0x28
	v_mul_hi_u32 v4, 0xaaaaaaab, v3
	v_mul_hi_u32 v9, 0x3030304, v0
	s_lshl_b64 s[4:5], s[14:15], 3
	s_add_u32 s2, s18, s4
	s_addc_u32 s3, s19, s5
	v_lshrrev_b32_e32 v4, 1, v4
	v_lshl_add_u32 v4, v4, 1, v4
	v_sub_nc_u32_e32 v4, v3, v4
	s_waitcnt lgkmcnt(0)
	v_cmp_gt_u64_e32 vcc_lo, s[0:1], v[5:6]
	v_cmp_le_u64_e64 s0, s[0:1], v[5:6]
                                        ; implicit-def: $vgpr3
	s_and_saveexec_b32 s1, s0
	s_xor_b32 s0, exec_lo, s1
; %bb.9:
	v_mul_u32_u24_e32 v3, 0x55, v9
                                        ; implicit-def: $vgpr9
                                        ; implicit-def: $vgpr7_vgpr8
	v_sub_nc_u32_e32 v3, v0, v3
                                        ; implicit-def: $vgpr0
; %bb.10:
	s_or_saveexec_b32 s1, s0
	s_load_dwordx2 s[2:3], s[2:3], 0x0
	v_mul_u32_u24_e32 v4, 0x551, v4
	v_lshlrev_b32_e32 v24, 2, v4
	s_xor_b32 exec_lo, exec_lo, s1
	s_cbranch_execz .LBB0_14
; %bb.11:
	s_add_u32 s4, s16, s4
	s_addc_u32 s5, s17, s5
	v_lshlrev_b64 v[7:8], 2, v[7:8]
	s_load_dwordx2 s[4:5], s[4:5], 0x0
	s_waitcnt lgkmcnt(0)
	v_mul_lo_u32 v3, s5, v5
	v_mul_lo_u32 v12, s4, v6
	v_mad_u64_u32 v[10:11], null, s4, v5, 0
	s_mov_b32 s4, exec_lo
	v_add3_u32 v11, v11, v12, v3
	v_mul_u32_u24_e32 v3, 0x55, v9
	v_lshlrev_b64 v[9:10], 2, v[10:11]
	v_sub_nc_u32_e32 v3, v0, v3
	v_lshlrev_b32_e32 v14, 2, v3
	v_add_co_u32 v0, s0, s8, v9
	v_add_co_ci_u32_e64 v9, s0, s9, v10, s0
	v_add_co_u32 v0, s0, v0, v7
	v_add_co_ci_u32_e64 v7, s0, v9, v8, s0
	;; [unrolled: 2-line block ×5, first 2 shown]
	s_clause 0xf
	global_load_dword v15, v[8:9], off
	global_load_dword v16, v[8:9], off offset:340
	global_load_dword v17, v[8:9], off offset:680
	global_load_dword v18, v[8:9], off offset:1020
	global_load_dword v19, v[8:9], off offset:1360
	global_load_dword v20, v[8:9], off offset:1700
	global_load_dword v9, v[8:9], off offset:2040
	global_load_dword v21, v[10:11], off offset:332
	global_load_dword v22, v[10:11], off offset:672
	global_load_dword v23, v[10:11], off offset:1012
	global_load_dword v25, v[10:11], off offset:1352
	global_load_dword v26, v[10:11], off offset:1692
	global_load_dword v10, v[10:11], off offset:2032
	global_load_dword v11, v[12:13], off offset:324
	global_load_dword v27, v[12:13], off offset:664
	global_load_dword v12, v[12:13], off offset:1004
	v_add3_u32 v8, 0, v24, v14
	v_add_nc_u32_e32 v13, 0x400, v8
	v_add_nc_u32_e32 v14, 0x600, v8
	;; [unrolled: 1-line block ×6, first 2 shown]
	s_waitcnt vmcnt(14)
	ds_write2_b32 v8, v15, v16 offset1:85
	s_waitcnt vmcnt(12)
	ds_write2_b32 v8, v17, v18 offset0:170 offset1:255
	s_waitcnt vmcnt(10)
	ds_write2_b32 v13, v19, v20 offset0:84 offset1:169
	;; [unrolled: 2-line block ×7, first 2 shown]
	v_cmpx_eq_u32_e32 0x54, v3
	s_cbranch_execz .LBB0_13
; %bb.12:
	v_add_co_u32 v9, s0, 0x1000, v0
	v_add_co_ci_u32_e64 v10, s0, 0, v7, s0
	v_mov_b32_e32 v3, 0x54
	global_load_dword v0, v[9:10], off offset:1344
	s_waitcnt vmcnt(0)
	ds_write_b32 v8, v0 offset:5104
.LBB0_13:
	s_or_b32 exec_lo, exec_lo, s4
.LBB0_14:
	s_or_b32 exec_lo, exec_lo, s1
	v_lshl_add_u32 v0, v4, 2, 0
	v_lshlrev_b32_e32 v10, 2, v3
	s_waitcnt lgkmcnt(0)
	s_barrier
	buffer_gl0_inv
	s_add_u32 s1, s12, 0x14fc
	v_add_nc_u32_e32 v23, v0, v10
	v_sub_nc_u32_e32 v9, v0, v10
	s_addc_u32 s4, s13, 0
	s_mov_b32 s5, exec_lo
	ds_read_u16 v13, v23
	ds_read_u16 v14, v9 offset:5440
                                        ; implicit-def: $vgpr7_vgpr8
	s_waitcnt lgkmcnt(0)
	v_add_f16_e32 v12, v14, v13
	v_sub_f16_e32 v11, v13, v14
	v_cmpx_ne_u32_e32 0, v3
	s_xor_b32 s5, exec_lo, s5
	s_cbranch_execz .LBB0_16
; %bb.15:
	v_mov_b32_e32 v4, 0
	v_add_f16_e32 v12, v14, v13
	v_sub_f16_e32 v13, v13, v14
	v_lshlrev_b64 v[7:8], 2, v[3:4]
	v_add_co_u32 v7, s0, s1, v7
	v_add_co_ci_u32_e64 v8, s0, s4, v8, s0
	global_load_dword v7, v[7:8], off
	ds_read_u16 v8, v9 offset:5442
	ds_read_u16 v11, v23 offset:2
	s_waitcnt lgkmcnt(0)
	v_add_f16_e32 v14, v8, v11
	v_sub_f16_e32 v8, v11, v8
	s_waitcnt vmcnt(0)
	v_lshrrev_b32_e32 v15, 16, v7
	v_fma_f16 v16, -v13, v15, v12
	v_fma_f16 v17, v14, v15, -v8
	v_fma_f16 v11, v14, v15, v8
	v_fma_f16 v12, v13, v15, v12
	v_fmac_f16_e32 v16, v7, v14
	v_fmac_f16_e32 v17, v13, v7
	;; [unrolled: 1-line block ×3, first 2 shown]
	v_fma_f16 v12, -v7, v14, v12
	v_mov_b32_e32 v8, v4
	v_mov_b32_e32 v7, v3
	v_pack_b32_f16 v13, v16, v17
	ds_write_b32 v9, v13 offset:5440
.LBB0_16:
	s_andn2_saveexec_b32 s0, s5
	s_cbranch_execz .LBB0_18
; %bb.17:
	ds_read_b32 v4, v0 offset:2720
	v_mov_b32_e32 v7, 0
	v_mov_b32_e32 v8, 0
	s_waitcnt lgkmcnt(0)
	v_pk_mul_f16 v4, 0xc0004000, v4
	ds_write_b32 v0, v4 offset:2720
.LBB0_18:
	s_or_b32 exec_lo, exec_lo, s0
	v_lshlrev_b64 v[7:8], 2, v[7:8]
	v_mov_b32_e32 v102, 0xb5c8
	v_mov_b32_e32 v107, 0xb964
	;; [unrolled: 1-line block ×5, first 2 shown]
	v_add_co_u32 v7, s0, s1, v7
	v_add_co_ci_u32_e64 v8, s0, s4, v8, s0
	v_mov_b32_e32 v108, 0xba62
	v_mov_b32_e32 v106, 0xb836
	;; [unrolled: 1-line block ×3, first 2 shown]
	s_clause 0x5
	global_load_dword v4, v[7:8], off offset:340
	global_load_dword v13, v[7:8], off offset:680
	;; [unrolled: 1-line block ×6, first 2 shown]
	v_add_co_u32 v7, s0, 0x800, v7
	v_add_co_ci_u32_e64 v8, s0, 0, v8, s0
	s_mov_b32 s1, exec_lo
	global_load_dword v7, v[7:8], off offset:332
	v_perm_b32 v8, v11, v12, 0x5040100
	ds_write_b32 v23, v8
	ds_read_b32 v8, v23 offset:340
	ds_read_b32 v11, v9 offset:5100
	s_waitcnt lgkmcnt(0)
	v_add_f16_e32 v12, v8, v11
	v_add_f16_sdwa v18, v11, v8 dst_sel:DWORD dst_unused:UNUSED_PAD src0_sel:WORD_1 src1_sel:WORD_1
	v_sub_f16_e32 v19, v8, v11
	v_sub_f16_sdwa v8, v8, v11 dst_sel:DWORD dst_unused:UNUSED_PAD src0_sel:WORD_1 src1_sel:WORD_1
	s_waitcnt vmcnt(6)
	v_lshrrev_b32_e32 v20, 16, v4
	v_fma_f16 v11, v19, v20, v12
	v_fma_f16 v21, v18, v20, v8
	v_fma_f16 v12, -v19, v20, v12
	v_fma_f16 v8, v18, v20, -v8
	v_fma_f16 v11, -v4, v18, v11
	v_fmac_f16_e32 v21, v19, v4
	v_fmac_f16_e32 v12, v4, v18
	;; [unrolled: 1-line block ×3, first 2 shown]
	v_pack_b32_f16 v4, v11, v21
	s_waitcnt vmcnt(5)
	v_lshrrev_b32_e32 v11, 16, v13
	v_pack_b32_f16 v8, v12, v8
	ds_write_b32 v23, v4 offset:340
	ds_write_b32 v9, v8 offset:5100
	ds_read_b32 v4, v23 offset:680
	ds_read_b32 v8, v9 offset:4760
	s_waitcnt lgkmcnt(0)
	v_add_f16_e32 v12, v4, v8
	v_add_f16_sdwa v18, v8, v4 dst_sel:DWORD dst_unused:UNUSED_PAD src0_sel:WORD_1 src1_sel:WORD_1
	v_sub_f16_e32 v19, v4, v8
	v_sub_f16_sdwa v4, v4, v8 dst_sel:DWORD dst_unused:UNUSED_PAD src0_sel:WORD_1 src1_sel:WORD_1
	v_fma_f16 v8, v19, v11, v12
	v_fma_f16 v20, v18, v11, v4
	v_fma_f16 v12, -v19, v11, v12
	v_fma_f16 v4, v18, v11, -v4
	s_waitcnt vmcnt(4)
	v_lshrrev_b32_e32 v11, 16, v14
	v_fma_f16 v8, -v13, v18, v8
	v_fmac_f16_e32 v20, v19, v13
	v_fmac_f16_e32 v12, v13, v18
	v_fmac_f16_e32 v4, v19, v13
	v_pack_b32_f16 v8, v8, v20
	v_pack_b32_f16 v4, v12, v4
	ds_write_b32 v23, v8 offset:680
	ds_write_b32 v9, v4 offset:4760
	ds_read_b32 v4, v23 offset:1020
	ds_read_b32 v8, v9 offset:4420
	s_waitcnt lgkmcnt(0)
	v_add_f16_e32 v12, v4, v8
	v_add_f16_sdwa v13, v8, v4 dst_sel:DWORD dst_unused:UNUSED_PAD src0_sel:WORD_1 src1_sel:WORD_1
	v_sub_f16_e32 v18, v4, v8
	v_sub_f16_sdwa v4, v4, v8 dst_sel:DWORD dst_unused:UNUSED_PAD src0_sel:WORD_1 src1_sel:WORD_1
	v_fma_f16 v8, v18, v11, v12
	v_fma_f16 v19, v13, v11, v4
	v_fma_f16 v12, -v18, v11, v12
	v_fma_f16 v4, v13, v11, -v4
	s_waitcnt vmcnt(3)
	v_lshrrev_b32_e32 v11, 16, v15
	v_fma_f16 v8, -v14, v13, v8
	v_fmac_f16_e32 v19, v18, v14
	v_fmac_f16_e32 v12, v14, v13
	v_fmac_f16_e32 v4, v18, v14
	v_pack_b32_f16 v8, v8, v19
	;; [unrolled: 21-line block ×5, first 2 shown]
	v_pack_b32_f16 v4, v12, v4
	ds_write_b32 v23, v8 offset:2040
	ds_write_b32 v9, v4 offset:3400
	ds_read_b32 v4, v23 offset:2380
	ds_read_b32 v8, v9 offset:3060
	s_waitcnt lgkmcnt(0)
	v_add_f16_e32 v12, v4, v8
	v_add_f16_sdwa v13, v8, v4 dst_sel:DWORD dst_unused:UNUSED_PAD src0_sel:WORD_1 src1_sel:WORD_1
	v_sub_f16_e32 v14, v4, v8
	v_sub_f16_sdwa v4, v4, v8 dst_sel:DWORD dst_unused:UNUSED_PAD src0_sel:WORD_1 src1_sel:WORD_1
	v_fma_f16 v8, v14, v11, v12
	v_fma_f16 v15, v13, v11, v4
	v_fma_f16 v12, -v14, v11, v12
	v_fma_f16 v11, v13, v11, -v4
	v_add3_u32 v4, 0, v10, v24
	v_fma_f16 v8, -v7, v13, v8
	v_fmac_f16_e32 v15, v14, v7
	v_fmac_f16_e32 v12, v7, v13
	;; [unrolled: 1-line block ×3, first 2 shown]
	v_add_nc_u32_e32 v10, 0x1200, v4
	v_add_nc_u32_e32 v29, 0x1000, v4
	v_pack_b32_f16 v7, v8, v15
	v_add_nc_u32_e32 v30, 0xc00, v4
	v_pack_b32_f16 v8, v12, v11
	ds_write_b32 v23, v7 offset:2380
	ds_write_b32 v9, v8 offset:3060
	s_waitcnt lgkmcnt(0)
	s_barrier
	buffer_gl0_inv
	s_barrier
	buffer_gl0_inv
	ds_read2_b32 v[21:22], v4 offset0:80 offset1:160
	ds_read2_b32 v[7:8], v10 offset0:48 offset1:128
	v_add_nc_u32_e32 v11, 0x200, v4
	ds_read2_b32 v[9:10], v29 offset0:16 offset1:96
	ds_read2_b32 v[11:12], v11 offset0:112 offset1:192
	v_add_nc_u32_e32 v15, 0xa00, v4
	v_add_nc_u32_e32 v31, 0x400, v4
	;; [unrolled: 1-line block ×3, first 2 shown]
	ds_read2_b32 v[13:14], v30 offset0:112 offset1:192
	ds_read2_b32 v[19:20], v31 offset0:144 offset1:224
	ds_read2_b32 v[15:16], v15 offset0:80 offset1:160
	ds_read2_b32 v[17:18], v32 offset0:48 offset1:128
	ds_read_b32 v51, v23
	s_waitcnt lgkmcnt(0)
	s_barrier
	buffer_gl0_inv
	v_pk_add_f16 v48, v8, v21
	v_pk_add_f16 v46, v21, v8 neg_lo:[0,1] neg_hi:[0,1]
	v_pk_add_f16 v47, v7, v22
	v_pk_add_f16 v44, v22, v7 neg_lo:[0,1] neg_hi:[0,1]
	v_pk_add_f16 v45, v10, v11
	v_pk_add_f16 v43, v9, v12
	v_mul_f16_sdwa v57, v46, v102 dst_sel:DWORD dst_unused:UNUSED_PAD src0_sel:WORD_1 src1_sel:DWORD
	v_lshrrev_b32_e32 v71, 16, v48
	v_mul_f16_e32 v69, 0xb964, v46
	v_pk_mul_f16 v25, 0x3b7639e9, v48
	v_pk_add_f16 v42, v11, v10 neg_lo:[0,1] neg_hi:[0,1]
	v_pk_add_f16 v40, v12, v9 neg_lo:[0,1] neg_hi:[0,1]
	v_mul_f16_sdwa v56, v44, v107 dst_sel:DWORD dst_unused:UNUSED_PAD src0_sel:WORD_1 src1_sel:DWORD
	v_lshrrev_b32_e32 v72, 16, v47
	v_mul_f16_e32 v70, 0xbbf7, v44
	v_pk_mul_f16 v26, 0x39e92de8, v47
	v_pk_mul_f16 v27, 0x3722b8d2, v45
	;; [unrolled: 1-line block ×3, first 2 shown]
	v_fmamk_f16 v84, v48, 0x3b76, v57
	v_fma_f16 v86, v71, 0x39e9, -v69
	v_pk_fma_f16 v74, 0xb964b5c8, v46, v25 op_sel:[0,0,1] op_sel_hi:[1,1,0] neg_lo:[0,1,0] neg_hi:[0,1,0]
	v_pk_fma_f16 v76, 0xb964b5c8, v46, v25 op_sel:[0,0,1] op_sel_hi:[1,1,0]
	v_mul_f16_sdwa v55, v42, v109 dst_sel:DWORD dst_unused:UNUSED_PAD src0_sel:WORD_1 src1_sel:DWORD
	v_lshrrev_b32_e32 v67, 16, v45
	v_mul_f16_e32 v63, 0xba62, v42
	v_fmamk_f16 v88, v47, 0x39e9, v56
	v_fma_f16 v90, v72, 0x2de8, -v70
	v_pk_fma_f16 v77, 0xbbf7b964, v44, v26 op_sel:[0,0,1] op_sel_hi:[1,1,0] neg_lo:[0,1,0] neg_hi:[0,1,0]
	v_pk_fma_f16 v80, 0xbbf7b964, v44, v26 op_sel:[0,0,1] op_sel_hi:[1,1,0]
	v_pk_fma_f16 v81, 0xba62bb29, v42, v27 op_sel:[0,0,1] op_sel_hi:[1,1,0] neg_lo:[0,1,0] neg_hi:[0,1,0]
	v_pk_fma_f16 v83, 0xba62bb29, v42, v27 op_sel:[0,0,1] op_sel_hi:[1,1,0]
	;; [unrolled: 2-line block ×3, first 2 shown]
	v_add_f16_e32 v25, v51, v84
	v_add_f16_sdwa v26, v51, v86 dst_sel:DWORD dst_unused:UNUSED_PAD src0_sel:WORD_1 src1_sel:DWORD
	v_add_f16_sdwa v27, v51, v74 dst_sel:DWORD dst_unused:UNUSED_PAD src0_sel:WORD_1 src1_sel:DWORD
	v_add_f16_sdwa v28, v51, v76 dst_sel:DWORD dst_unused:UNUSED_PAD src0_sel:DWORD src1_sel:WORD_1
	v_pk_add_f16 v41, v14, v19
	v_pk_add_f16 v37, v19, v14 neg_lo:[0,1] neg_hi:[0,1]
	v_mul_f16_sdwa v54, v40, v105 dst_sel:DWORD dst_unused:UNUSED_PAD src0_sel:WORD_1 src1_sel:DWORD
	v_lshrrev_b32_e32 v68, 16, v43
	v_mul_f16_e32 v62, 0xb1e1, v40
	v_fmamk_f16 v91, v45, 0x3722, v55
	v_fma_f16 v92, v67, 0xb8d2, -v63
	v_add_f16_e32 v25, v88, v25
	v_add_f16_e32 v26, v90, v26
	;; [unrolled: 1-line block ×3, first 2 shown]
	v_add_f16_sdwa v28, v80, v28 dst_sel:DWORD dst_unused:UNUSED_PAD src0_sel:WORD_1 src1_sel:DWORD
	v_pk_add_f16 v39, v13, v20
	v_pk_add_f16 v35, v20, v13 neg_lo:[0,1] neg_hi:[0,1]
	v_mul_f16_sdwa v53, v37, v97 dst_sel:DWORD dst_unused:UNUSED_PAD src0_sel:WORD_1 src1_sel:DWORD
	v_lshrrev_b32_e32 v64, 16, v41
	v_mul_f16_e32 v60, 0x3836, v37
	v_pk_mul_f16 v82, 0xb461bacd, v41
	v_fmamk_f16 v93, v43, 0x2de8, v54
	v_fma_f16 v94, v68, 0xbbdd, -v62
	v_add_f16_e32 v25, v91, v25
	v_add_f16_e32 v26, v92, v26
	;; [unrolled: 1-line block ×3, first 2 shown]
	v_add_f16_sdwa v28, v83, v28 dst_sel:DWORD dst_unused:UNUSED_PAD src0_sel:WORD_1 src1_sel:DWORD
	v_pk_add_f16 v34, v17, v16 neg_lo:[0,1] neg_hi:[0,1]
	v_pk_add_f16 v38, v16, v17
	v_mul_f16_sdwa v52, v35, v108 dst_sel:DWORD dst_unused:UNUSED_PAD src0_sel:WORD_1 src1_sel:DWORD
	v_lshrrev_b32_e32 v65, 16, v39
	v_mul_f16_e32 v59, 0x3bb2, v35
	v_pk_mul_f16 v85, 0xb8d2b461, v39
	v_fmamk_f16 v95, v41, 0xb461, v53
	v_fma_f16 v96, v64, 0xbacd, -v60
	v_pk_fma_f16 v79, 0x3836bbb2, v37, v82 op_sel:[0,0,1] op_sel_hi:[1,1,0] neg_lo:[0,1,0] neg_hi:[0,1,0]
	v_pk_fma_f16 v82, 0x3836bbb2, v37, v82 op_sel:[0,0,1] op_sel_hi:[1,1,0]
	v_add_f16_e32 v25, v93, v25
	v_add_f16_e32 v26, v94, v26
	;; [unrolled: 1-line block ×3, first 2 shown]
	v_add_f16_sdwa v28, v78, v28 dst_sel:DWORD dst_unused:UNUSED_PAD src0_sel:WORD_1 src1_sel:DWORD
	v_pk_add_f16 v33, v18, v15 neg_lo:[0,1] neg_hi:[0,1]
	v_pk_add_f16 v36, v15, v18
	v_mul_f16_sdwa v50, v34, v106 dst_sel:DWORD dst_unused:UNUSED_PAD src0_sel:WORD_1 src1_sel:DWORD
	v_lshrrev_b32_e32 v66, 16, v38
	v_mul_f16_e32 v58, 0x3b29, v34
	v_pk_mul_f16 v87, 0xbacd3722, v38
	v_fmamk_f16 v98, v39, 0xb8d2, v52
	v_fma_f16 v99, v65, 0xb461, -v59
	v_pk_fma_f16 v84, 0x3bb2ba62, v35, v85 op_sel:[0,0,1] op_sel_hi:[1,1,0] neg_lo:[0,1,0] neg_hi:[0,1,0]
	v_pk_fma_f16 v86, 0x3bb2ba62, v35, v85 op_sel:[0,0,1] op_sel_hi:[1,1,0]
	v_add_f16_e32 v25, v95, v25
	v_add_f16_e32 v26, v96, v26
	v_add_f16_e32 v27, v79, v27
	v_add_f16_sdwa v28, v82, v28 dst_sel:DWORD dst_unused:UNUSED_PAD src0_sel:WORD_1 src1_sel:DWORD
	v_mul_f16_sdwa v49, v33, v104 dst_sel:DWORD dst_unused:UNUSED_PAD src0_sel:WORD_1 src1_sel:DWORD
	v_lshrrev_b32_e32 v73, 16, v36
	v_mul_f16_e32 v61, 0x35c8, v33
	v_pk_mul_f16 v89, 0xbbdd3b76, v36
	v_fmamk_f16 v100, v38, 0xbacd, v50
	v_fma_f16 v101, v66, 0x3722, -v58
	v_pk_fma_f16 v85, 0x3b29b836, v34, v87 op_sel:[0,0,1] op_sel_hi:[1,1,0] neg_lo:[0,1,0] neg_hi:[0,1,0]
	v_pk_fma_f16 v87, 0x3b29b836, v34, v87 op_sel:[0,0,1] op_sel_hi:[1,1,0]
	v_add_f16_e32 v25, v98, v25
	v_add_f16_e32 v26, v99, v26
	;; [unrolled: 1-line block ×3, first 2 shown]
	v_add_f16_sdwa v28, v86, v28 dst_sel:DWORD dst_unused:UNUSED_PAD src0_sel:WORD_1 src1_sel:DWORD
	v_fmamk_f16 v103, v36, 0xbbdd, v49
	v_fma_f16 v110, v73, 0x3b76, -v61
	v_pk_fma_f16 v88, 0x35c8b1e1, v33, v89 op_sel:[0,0,1] op_sel_hi:[1,1,0] neg_lo:[0,1,0] neg_hi:[0,1,0]
	v_pk_fma_f16 v89, 0x35c8b1e1, v33, v89 op_sel:[0,0,1] op_sel_hi:[1,1,0]
	v_add_f16_e32 v25, v100, v25
	v_add_f16_e32 v26, v101, v26
	v_add_f16_e32 v90, v85, v27
	v_add_f16_sdwa v91, v87, v28 dst_sel:DWORD dst_unused:UNUSED_PAD src0_sel:WORD_1 src1_sel:DWORD
	v_add_f16_e32 v27, v103, v25
	v_add_f16_e32 v26, v110, v26
	;; [unrolled: 1-line block ×3, first 2 shown]
	v_add_f16_sdwa v25, v89, v91 dst_sel:DWORD dst_unused:UNUSED_PAD src0_sel:WORD_1 src1_sel:DWORD
	v_cmpx_gt_u32_e32 0x50, v3
	s_cbranch_execz .LBB0_20
; %bb.19:
	v_mul_f16_e32 v101, 0x3722, v71
	v_mul_f16_e32 v98, 0xb8d2, v72
	v_mul_f16_sdwa v96, v46, v109 dst_sel:DWORD dst_unused:UNUSED_PAD src0_sel:WORD_1 src1_sel:DWORD
	v_mul_f16_e32 v94, 0xbbdd, v67
	v_mul_f16_sdwa v93, v44, v108 dst_sel:DWORD dst_unused:UNUSED_PAD src0_sel:WORD_1 src1_sel:DWORD
	v_fmamk_f16 v95, v46, 0x3b29, v101
	v_fmamk_f16 v99, v44, 0x3a62, v98
	v_mov_b32_e32 v100, 0x31e1
	v_fmamk_f16 v103, v48, 0x3722, v96
	v_mul_f16_e32 v92, 0xb461, v68
	v_add_f16_sdwa v95, v51, v95 dst_sel:DWORD dst_unused:UNUSED_PAD src0_sel:WORD_1 src1_sel:DWORD
	v_mov_b32_e32 v111, 0x3bb2
	v_fmamk_f16 v110, v42, 0xb1e1, v94
	v_fmamk_f16 v112, v47, 0xb8d2, v93
	v_mul_f16_e32 v91, 0x39e9, v64
	v_add_f16_e32 v95, v99, v95
	v_mul_f16_sdwa v99, v42, v100 dst_sel:DWORD dst_unused:UNUSED_PAD src0_sel:WORD_1 src1_sel:DWORD
	v_add_f16_e32 v100, v51, v103
	v_fmamk_f16 v103, v40, 0xbbb2, v92
	v_mul_f16_e32 v90, 0x3b76, v65
	v_add_f16_e32 v95, v110, v95
	v_mov_b32_e32 v110, 0x3964
	v_fmamk_f16 v113, v45, 0xbbdd, v99
	v_add_f16_e32 v112, v112, v100
	v_mul_f16_sdwa v100, v40, v111 dst_sel:DWORD dst_unused:UNUSED_PAD src0_sel:WORD_1 src1_sel:DWORD
	v_add_f16_e32 v103, v103, v95
	v_fmamk_f16 v114, v37, 0xb964, v91
	v_mul_f16_sdwa v95, v37, v110 dst_sel:DWORD dst_unused:UNUSED_PAD src0_sel:WORD_1 src1_sel:DWORD
	v_add_f16_e32 v112, v113, v112
	v_fmamk_f16 v113, v43, 0xb461, v100
	v_fmamk_f16 v115, v35, 0x35c8, v90
	v_add_f16_e32 v114, v114, v103
	v_fmamk_f16 v116, v41, 0x39e9, v95
	v_mul_f16_e32 v120, 0x2de8, v71
	v_add_f16_e32 v112, v113, v112
	v_mul_f16_e32 v103, 0x2de8, v66
	v_add_f16_e32 v115, v115, v114
	v_mul_f16_sdwa v114, v35, v102 dst_sel:DWORD dst_unused:UNUSED_PAD src0_sel:WORD_1 src1_sel:DWORD
	v_mul_f16_e32 v121, 0xbbdd, v72
	v_add_f16_e32 v112, v116, v112
	v_fmamk_f16 v116, v46, 0x3bf7, v120
	v_fmamk_f16 v117, v34, 0x3bf7, v103
	v_mul_f16_e32 v113, 0xbacd, v73
	v_fmamk_f16 v119, v39, 0x3b76, v114
	v_fmamk_f16 v122, v44, 0x31e1, v121
	v_add_f16_sdwa v116, v51, v116 dst_sel:DWORD dst_unused:UNUSED_PAD src0_sel:WORD_1 src1_sel:DWORD
	v_mul_f16_e32 v118, 0xb461, v67
	v_add_f16_e32 v115, v117, v115
	v_fmamk_f16 v117, v33, 0x3836, v113
	v_add_f16_e32 v112, v119, v112
	v_pk_add_f16 v123, v51, v21
	v_add_f16_e32 v116, v122, v116
	v_fmamk_f16 v122, v42, 0xbbb2, v118
	v_mul_f16_e32 v119, 0x3b76, v68
	v_mul_f16_sdwa v124, v46, v105 dst_sel:DWORD dst_unused:UNUSED_PAD src0_sel:WORD_1 src1_sel:DWORD
	v_add_f16_e32 v21, v117, v115
	v_pk_add_f16 v117, v123, v22
	v_add_f16_e32 v22, v122, v116
	v_fmamk_f16 v122, v40, 0xb5c8, v119
	v_fmamk_f16 v123, v48, 0x2de8, v124
	v_mul_f16_sdwa v126, v44, v104 dst_sel:DWORD dst_unused:UNUSED_PAD src0_sel:WORD_1 src1_sel:DWORD
	v_mul_f16_sdwa v115, v34, v105 dst_sel:DWORD dst_unused:UNUSED_PAD src0_sel:WORD_1 src1_sel:DWORD
	;; [unrolled: 1-line block ×3, first 2 shown]
	v_add_f16_e32 v22, v122, v22
	v_mul_f16_e32 v122, 0x3722, v64
	v_add_f16_e32 v127, v51, v123
	v_fmamk_f16 v128, v47, 0xbbdd, v126
	v_mov_b32_e32 v130, 0x35c8
	v_fmamk_f16 v125, v38, 0x2de8, v115
	v_fmamk_f16 v131, v37, 0x3b29, v122
	v_mul_f16_e32 v123, 0xbacd, v65
	v_add_f16_e32 v127, v128, v127
	v_fmamk_f16 v128, v45, 0xb461, v129
	v_mul_f16_sdwa v130, v40, v130 dst_sel:DWORD dst_unused:UNUSED_PAD src0_sel:WORD_1 src1_sel:DWORD
	v_add_f16_e32 v112, v125, v112
	v_add_f16_e32 v22, v131, v22
	v_fmamk_f16 v125, v35, 0x3836, v123
	v_add_f16_e32 v127, v128, v127
	v_fmamk_f16 v128, v43, 0x3b76, v130
	v_mul_f16_sdwa v131, v37, v109 dst_sel:DWORD dst_unused:UNUSED_PAD src0_sel:WORD_1 src1_sel:DWORD
	v_mul_f16_sdwa v116, v33, v106 dst_sel:DWORD dst_unused:UNUSED_PAD src0_sel:WORD_1 src1_sel:DWORD
	v_add_f16_e32 v22, v125, v22
	v_mul_f16_e32 v125, 0xb8d2, v66
	v_add_f16_e32 v127, v128, v127
	v_fmamk_f16 v128, v41, 0x3722, v131
	v_mul_f16_sdwa v133, v35, v106 dst_sel:DWORD dst_unused:UNUSED_PAD src0_sel:WORD_1 src1_sel:DWORD
	v_mov_b32_e32 v134, 0x3a62
	v_fmamk_f16 v132, v36, 0xbacd, v116
	v_fmamk_f16 v135, v34, 0xba62, v125
	v_add_f16_e32 v127, v128, v127
	v_fmamk_f16 v128, v39, 0xbacd, v133
	v_mul_f16_sdwa v137, v34, v134 dst_sel:DWORD dst_unused:UNUSED_PAD src0_sel:WORD_1 src1_sel:DWORD
	v_mul_f16_e32 v138, 0xb461, v71
	v_add_f16_e32 v135, v135, v22
	v_add_f16_e32 v22, v132, v112
	;; [unrolled: 1-line block ×3, first 2 shown]
	v_fmamk_f16 v128, v38, 0xb8d2, v137
	v_fmamk_f16 v140, v46, 0x3bb2, v138
	v_mul_f16_e32 v132, 0xbacd, v72
	v_mul_f16_e32 v141, 0x39e9, v67
	v_mul_f16_sdwa v142, v33, v110 dst_sel:DWORD dst_unused:UNUSED_PAD src0_sel:WORD_1 src1_sel:DWORD
	v_add_f16_e32 v127, v128, v127
	v_add_f16_sdwa v128, v51, v140 dst_sel:DWORD dst_unused:UNUSED_PAD src0_sel:WORD_1 src1_sel:DWORD
	v_fmamk_f16 v140, v44, 0xb836, v132
	v_mul_f16_e32 v144, 0x3722, v68
	v_mul_f16_e32 v136, 0x39e9, v73
	v_fmamk_f16 v147, v36, 0x39e9, v142
	v_mul_f16_sdwa v148, v40, v109 dst_sel:DWORD dst_unused:UNUSED_PAD src0_sel:WORD_1 src1_sel:DWORD
	v_add_f16_e32 v128, v140, v128
	v_fmamk_f16 v140, v42, 0xb964, v141
	v_fmamk_f16 v139, v33, 0xb964, v136
	v_add_f16_e32 v109, v147, v127
	v_mul_f16_e32 v150, 0x2de8, v65
	v_mul_f16_sdwa v146, v42, v110 dst_sel:DWORD dst_unused:UNUSED_PAD src0_sel:WORD_1 src1_sel:DWORD
	v_add_f16_e32 v128, v140, v128
	v_fmamk_f16 v140, v40, 0x3b29, v144
	v_add_f16_e32 v112, v139, v135
	v_mul_f16_sdwa v135, v46, v97 dst_sel:DWORD dst_unused:UNUSED_PAD src0_sel:WORD_1 src1_sel:DWORD
	v_mov_b32_e32 v139, 0x3836
	v_mul_f16_e32 v152, 0x3b76, v66
	v_add_f16_e32 v127, v140, v128
	v_mul_f16_e32 v128, 0xbbdd, v64
	v_fmamk_f16 v143, v48, 0xb461, v135
	v_mul_f16_sdwa v139, v44, v139 dst_sel:DWORD dst_unused:UNUSED_PAD src0_sel:WORD_1 src1_sel:DWORD
	v_fmamk_f16 v154, v34, 0x35c8, v152
	v_mul_f16_e32 v155, 0xb8d2, v73
	v_fmamk_f16 v149, v37, 0x31e1, v128
	v_add_f16_e32 v143, v51, v143
	v_fmamk_f16 v145, v47, 0xbacd, v139
	v_mul_f16_e32 v157, 0xb461, v72
	v_mov_b32_e32 v147, 0x3bf7
	v_add_f16_e32 v127, v149, v127
	v_fmamk_f16 v149, v35, 0xbbf7, v150
	v_add_f16_e32 v143, v145, v143
	v_fmamk_f16 v145, v45, 0x39e9, v146
	v_fmamk_f16 v159, v44, 0xbbb2, v157
	v_mul_f16_e32 v160, 0x3b76, v67
	v_add_f16_e32 v127, v149, v127
	v_mul_f16_e32 v149, 0xb8d2, v71
	v_add_f16_e32 v140, v145, v143
	v_fmamk_f16 v143, v43, 0x3722, v148
	v_mul_f16_sdwa v145, v37, v104 dst_sel:DWORD dst_unused:UNUSED_PAD src0_sel:WORD_1 src1_sel:DWORD
	v_add_f16_e32 v127, v154, v127
	v_fmamk_f16 v156, v46, 0x3a62, v149
	v_fmamk_f16 v154, v33, 0x3a62, v155
	v_mul_f16_sdwa v161, v46, v108 dst_sel:DWORD dst_unused:UNUSED_PAD src0_sel:WORD_1 src1_sel:DWORD
	v_add_f16_e32 v140, v143, v140
	v_fmamk_f16 v143, v41, 0xbbdd, v145
	v_add_f16_sdwa v156, v51, v156 dst_sel:DWORD dst_unused:UNUSED_PAD src0_sel:WORD_1 src1_sel:DWORD
	v_mul_f16_sdwa v151, v35, v147 dst_sel:DWORD dst_unused:UNUSED_PAD src0_sel:WORD_1 src1_sel:DWORD
	v_mul_f16_sdwa v158, v33, v108 dst_sel:DWORD dst_unused:UNUSED_PAD src0_sel:WORD_1 src1_sel:DWORD
	v_mul_f16_e32 v162, 0xbacd, v68
	v_add_f16_e32 v108, v154, v127
	v_add_f16_e32 v156, v159, v156
	v_fmamk_f16 v159, v42, 0x35c8, v160
	v_fmamk_f16 v127, v48, 0xb8d2, v161
	v_mul_f16_sdwa v154, v44, v111 dst_sel:DWORD dst_unused:UNUSED_PAD src0_sel:WORD_1 src1_sel:DWORD
	v_add_f16_e32 v140, v143, v140
	v_fmamk_f16 v143, v39, 0x2de8, v151
	v_mul_f16_sdwa v153, v34, v102 dst_sel:DWORD dst_unused:UNUSED_PAD src0_sel:WORD_1 src1_sel:DWORD
	v_add_f16_e32 v111, v159, v156
	v_fmamk_f16 v156, v40, 0x3836, v162
	v_mul_f16_e32 v159, 0x2de8, v64
	v_add_f16_e32 v127, v51, v127
	v_fmamk_f16 v163, v47, 0xb461, v154
	v_mul_f16_sdwa v164, v42, v102 dst_sel:DWORD dst_unused:UNUSED_PAD src0_sel:WORD_1 src1_sel:DWORD
	v_add_f16_e32 v140, v143, v140
	v_fmamk_f16 v143, v38, 0x3b76, v153
	v_add_f16_e32 v111, v156, v111
	v_fmamk_f16 v156, v37, 0xbbf7, v159
	v_mul_f16_e32 v165, 0x39e9, v65
	v_add_f16_e32 v127, v163, v127
	v_fmamk_f16 v163, v45, 0x3b76, v164
	v_mul_f16_sdwa v166, v40, v106 dst_sel:DWORD dst_unused:UNUSED_PAD src0_sel:WORD_1 src1_sel:DWORD
	v_add_f16_e32 v140, v143, v140
	v_fmamk_f16 v143, v36, 0xb8d2, v158
	;; [unrolled: 8-line block ×3, first 2 shown]
	v_add_f16_e32 v111, v143, v140
	v_add_f16_e32 v127, v163, v127
	v_fmamk_f16 v140, v41, 0x2de8, v147
	v_mul_f16_sdwa v143, v35, v107 dst_sel:DWORD dst_unused:UNUSED_PAD src0_sel:WORD_1 src1_sel:DWORD
	v_add_f16_e32 v107, v168, v156
	v_mul_f16_e32 v156, 0x3722, v73
	v_mul_f16_e32 v163, 0xbacd, v71
	v_add_f16_e32 v127, v140, v127
	v_fmamk_f16 v140, v39, 0x39e9, v143
	v_mul_f16_sdwa v168, v34, v104 dst_sel:DWORD dst_unused:UNUSED_PAD src0_sel:WORD_1 src1_sel:DWORD
	v_fmac_f16_e32 v120, 0xbbf7, v46
	v_fma_f16 v124, v48, 0x2de8, -v124
	v_fmamk_f16 v169, v33, 0xbb29, v156
	v_fmamk_f16 v170, v46, 0x3836, v163
	v_mul_f16_e32 v171, 0x3722, v72
	v_add_f16_e32 v127, v140, v127
	v_fmamk_f16 v140, v38, 0xbbdd, v168
	v_add_f16_sdwa v120, v51, v120 dst_sel:DWORD dst_unused:UNUSED_PAD src0_sel:WORD_1 src1_sel:DWORD
	v_fmac_f16_e32 v121, 0xb1e1, v44
	v_add_f16_e32 v124, v51, v124
	v_fma_f16 v126, v47, 0xbbdd, -v126
	v_add_f16_e32 v107, v169, v107
	v_add_f16_sdwa v169, v51, v170 dst_sel:DWORD dst_unused:UNUSED_PAD src0_sel:WORD_1 src1_sel:DWORD
	v_fmamk_f16 v170, v44, 0xbb29, v171
	v_mul_f16_e32 v172, 0x2de8, v67
	v_add_f16_e32 v127, v140, v127
	v_mov_b32_e32 v140, 0x3b29
	v_mul_f16_sdwa v106, v46, v106 dst_sel:DWORD dst_unused:UNUSED_PAD src0_sel:WORD_1 src1_sel:DWORD
	v_fmac_f16_e32 v163, 0xb836, v46
	v_add_f16_e32 v120, v121, v120
	v_fmac_f16_e32 v118, 0x3bb2, v42
	v_fmac_f16_e32 v101, 0xbb29, v46
	v_add_f16_e32 v121, v126, v124
	v_fma_f16 v124, v45, 0xb461, -v129
	v_add_f16_e32 v169, v170, v169
	v_fmamk_f16 v170, v42, 0x3bf7, v172
	v_mul_f16_e32 v173, 0xb8d2, v68
	v_mul_f16_sdwa v174, v33, v140 dst_sel:DWORD dst_unused:UNUSED_PAD src0_sel:WORD_1 src1_sel:DWORD
	v_fmamk_f16 v175, v48, 0xbacd, v106
	v_mul_f16_sdwa v140, v44, v140 dst_sel:DWORD dst_unused:UNUSED_PAD src0_sel:WORD_1 src1_sel:DWORD
	v_fma_f16 v106, v48, 0xbacd, -v106
	v_add_f16_sdwa v163, v51, v163 dst_sel:DWORD dst_unused:UNUSED_PAD src0_sel:WORD_1 src1_sel:DWORD
	v_fmac_f16_e32 v171, 0x3b29, v44
	v_add_f16_e32 v118, v118, v120
	v_fmac_f16_e32 v119, 0x35c8, v40
	v_add_f16_sdwa v101, v51, v101 dst_sel:DWORD dst_unused:UNUSED_PAD src0_sel:WORD_1 src1_sel:DWORD
	v_fmac_f16_e32 v98, 0xba62, v44
	v_add_f16_e32 v120, v124, v121
	v_fma_f16 v121, v43, 0x3b76, -v130
	v_add_f16_e32 v169, v170, v169
	v_fmamk_f16 v170, v40, 0xba62, v173
	v_mul_f16_e32 v176, 0x3b76, v64
	v_add_f16_e32 v175, v51, v175
	v_fmamk_f16 v177, v47, 0x3722, v140
	v_mul_f16_sdwa v105, v42, v105 dst_sel:DWORD dst_unused:UNUSED_PAD src0_sel:WORD_1 src1_sel:DWORD
	v_add_f16_e32 v106, v51, v106
	v_fma_f16 v140, v47, 0x3722, -v140
	v_add_f16_e32 v163, v171, v163
	v_fmac_f16_e32 v172, 0xbbf7, v42
	v_add_f16_e32 v118, v119, v118
	v_add_f16_e32 v98, v98, v101
	v_fmac_f16_e32 v94, 0x31e1, v42
	v_add_f16_e32 v101, v121, v120
	v_fma_f16 v119, v41, 0x3722, -v131
	v_add_f16_e32 v169, v170, v169
	v_fmamk_f16 v170, v37, 0x35c8, v176
	v_mul_f16_e32 v178, 0xbbdd, v65
	v_add_f16_e32 v175, v177, v175
	v_fmamk_f16 v177, v45, 0x2de8, v105
	v_mul_f16_sdwa v134, v40, v134 dst_sel:DWORD dst_unused:UNUSED_PAD src0_sel:WORD_1 src1_sel:DWORD
	v_add_f16_e32 v106, v140, v106
	v_fma_f16 v105, v45, 0x2de8, -v105
	v_add_f16_e32 v140, v172, v163
	v_fmac_f16_e32 v173, 0x3a62, v40
	v_add_f16_e32 v94, v94, v98
	v_fmac_f16_e32 v92, 0x3bb2, v40
	v_add_f16_e32 v98, v119, v101
	v_fma_f16 v101, v39, 0xbacd, -v133
	v_mul_f16_e32 v71, 0x39e9, v71
	v_pk_add_f16 v11, v117, v11
	v_add_f16_e32 v169, v170, v169
	v_fmamk_f16 v170, v35, 0x31e1, v178
	v_mul_f16_e32 v179, 0x39e9, v66
	v_add_f16_e32 v175, v177, v175
	v_fmamk_f16 v177, v43, 0xb8d2, v134
	v_mul_f16_sdwa v102, v37, v102 dst_sel:DWORD dst_unused:UNUSED_PAD src0_sel:WORD_1 src1_sel:DWORD
	v_fmac_f16_e32 v149, 0xba62, v46
	v_add_f16_e32 v105, v105, v106
	v_fma_f16 v106, v43, 0xb8d2, -v134
	v_add_f16_e32 v134, v173, v140
	v_fmac_f16_e32 v176, 0xb5c8, v37
	v_add_f16_e32 v92, v92, v94
	v_fmac_f16_e32 v91, 0x3964, v37
	v_add_f16_e32 v94, v101, v98
	v_fma_f16 v98, v38, 0xb8d2, -v137
	v_mul_f16_e32 v72, 0x2de8, v72
	v_add_f16_e32 v69, v69, v71
	v_pk_add_f16 v11, v11, v12
	v_add_f16_e32 v169, v170, v169
	v_fmamk_f16 v170, v34, 0xb964, v179
	v_mul_f16_e32 v180, 0xb461, v73
	v_add_f16_e32 v175, v177, v175
	v_fmamk_f16 v177, v41, 0x3b76, v102
	v_mul_f16_sdwa v104, v35, v104 dst_sel:DWORD dst_unused:UNUSED_PAD src0_sel:WORD_1 src1_sel:DWORD
	v_add_f16_sdwa v149, v51, v149 dst_sel:DWORD dst_unused:UNUSED_PAD src0_sel:WORD_1 src1_sel:DWORD
	v_fmac_f16_e32 v157, 0x3bb2, v44
	v_add_f16_e32 v105, v106, v105
	v_fma_f16 v102, v41, 0x3b76, -v102
	v_add_f16_e32 v106, v176, v134
	v_fmac_f16_e32 v178, 0xb1e1, v35
	v_add_f16_e32 v91, v91, v92
	v_fmac_f16_e32 v90, 0xb5c8, v35
	v_add_f16_e32 v92, v98, v94
	v_fma_f16 v94, v36, 0x39e9, -v142
	v_fma_f16 v96, v48, 0x3722, -v96
	v_add_f16_e32 v70, v70, v72
	v_add_f16_sdwa v69, v51, v69 dst_sel:DWORD dst_unused:UNUSED_PAD src0_sel:WORD_1 src1_sel:DWORD
	v_mul_f16_e32 v67, 0xb8d2, v67
	v_pk_add_f16 v11, v11, v19
	v_add_f16_e32 v169, v170, v169
	v_fmamk_f16 v170, v33, 0x3bb2, v180
	v_add_f16_e32 v175, v177, v175
	v_fmamk_f16 v177, v39, 0xbbdd, v104
	v_mul_f16_sdwa v110, v34, v110 dst_sel:DWORD dst_unused:UNUSED_PAD src0_sel:WORD_1 src1_sel:DWORD
	v_add_f16_e32 v140, v157, v149
	v_fmac_f16_e32 v160, 0xb5c8, v42
	v_add_f16_e32 v102, v102, v105
	v_fma_f16 v104, v39, 0xbbdd, -v104
	v_add_f16_e32 v105, v178, v106
	v_fmac_f16_e32 v179, 0x3964, v34
	v_add_f16_e32 v90, v90, v91
	v_add_f16_e32 v91, v94, v92
	;; [unrolled: 1-line block ×3, first 2 shown]
	v_fma_f16 v93, v47, 0xb8d2, -v93
	v_mul_f16_e32 v68, 0xbbdd, v68
	v_add_f16_e32 v69, v70, v69
	v_add_f16_e32 v63, v63, v67
	v_pk_add_f16 v11, v11, v20
	v_add_f16_e32 v169, v170, v169
	v_add_f16_e32 v170, v177, v175
	v_fmamk_f16 v175, v38, 0x39e9, v110
	v_mul_f16_sdwa v97, v33, v97 dst_sel:DWORD dst_unused:UNUSED_PAD src0_sel:WORD_1 src1_sel:DWORD
	v_add_f16_e32 v134, v160, v140
	v_fmac_f16_e32 v162, 0xb836, v40
	v_add_f16_e32 v102, v104, v102
	v_fma_f16 v104, v38, 0x39e9, -v110
	v_add_f16_e32 v105, v179, v105
	v_fmac_f16_e32 v180, 0xbbb2, v33
	v_fmac_f16_e32 v138, 0xbbb2, v46
	v_add_f16_e32 v92, v93, v92
	v_mul_f16_e32 v93, 0x3b76, v48
	v_fma_f16 v96, v45, 0xbbdd, -v99
	v_mul_f16_e32 v64, 0xbacd, v64
	v_add_f16_e32 v63, v63, v69
	v_add_f16_e32 v62, v62, v68
	v_pk_add_f16 v11, v11, v17
	v_add_f16_e32 v170, v175, v170
	v_fmamk_f16 v175, v36, 0xb461, v97
	v_add_f16_e32 v106, v162, v134
	v_add_f16_e32 v102, v104, v102
	v_fma_f16 v97, v36, 0xb461, -v97
	v_add_f16_e32 v104, v180, v105
	v_fma_f16 v105, v48, 0xb8d2, -v161
	v_add_f16_sdwa v110, v51, v138 dst_sel:DWORD dst_unused:UNUSED_PAD src0_sel:WORD_1 src1_sel:DWORD
	v_fmac_f16_e32 v132, 0x3836, v44
	v_fma_f16 v134, v48, 0xb461, -v135
	v_mul_f16_e32 v71, 0x39e9, v47
	v_add_f16_e32 v92, v96, v92
	v_fma_f16 v99, v43, 0xb461, -v100
	v_mul_f16_e32 v65, 0xb461, v65
	v_add_f16_e32 v12, v62, v63
	v_add_f16_e32 v60, v60, v64
	v_sub_f16_e32 v57, v93, v57
	v_pk_add_f16 v11, v11, v18
	v_add_f16_e32 v97, v97, v102
	v_add_f16_e32 v102, v51, v105
	;; [unrolled: 1-line block ×4, first 2 shown]
	v_alignbit_b32 v94, v51, v51, 16
	v_mul_f16_e32 v72, 0x3722, v45
	v_add_f16_e32 v92, v99, v92
	v_mul_f16_e32 v66, 0x3722, v66
	v_fma_f16 v95, v41, 0x39e9, -v95
	v_add_f16_e32 v12, v60, v12
	v_add_f16_e32 v59, v59, v65
	;; [unrolled: 1-line block ×3, first 2 shown]
	v_sub_f16_e32 v20, v71, v56
	v_pk_add_f16 v11, v11, v15
	v_mul_f16_e32 v96, 0x2de8, v43
	v_mul_f16_e32 v73, 0x3b76, v73
	v_add_f16_e32 v68, v95, v92
	v_fma_f16 v92, v39, 0x3b76, -v114
	v_add_f16_e32 v12, v59, v12
	v_add_f16_e32 v56, v58, v66
	;; [unrolled: 1-line block ×3, first 2 shown]
	v_sub_f16_e32 v20, v72, v55
	v_pk_add_f16 v11, v11, v16
	v_mul_f16_e32 v70, 0xb461, v41
	v_add_f16_e32 v62, v92, v68
	v_fma_f16 v19, v38, 0x2de8, -v115
	v_add_f16_e32 v12, v56, v12
	v_add_f16_e32 v18, v61, v73
	;; [unrolled: 1-line block ×3, first 2 shown]
	v_sub_f16_e32 v20, v96, v54
	v_pk_add_f16 v11, v11, v13
	v_mul_f16_e32 v67, 0xb8d2, v39
	v_add_f16_e32 v19, v19, v62
	v_fma_f16 v51, v36, 0xbacd, -v116
	v_add_f16_e32 v12, v18, v12
	v_add_f16_e32 v17, v20, v17
	v_sub_f16_e32 v18, v70, v53
	v_bfi_b32 v16, 0xffff, v76, v74
	v_pk_add_f16 v11, v11, v14
	v_mul_f16_e32 v99, 0xbacd, v38
	v_add_f16_e32 v15, v51, v19
	v_bfi_b32 v19, 0xffff, v80, v77
	v_add_f16_e32 v17, v18, v17
	v_sub_f16_e32 v13, v67, v52
	v_pk_add_f16 v14, v94, v16
	v_pk_add_f16 v9, v11, v9
	v_mul_f16_e32 v69, 0xbbdd, v36
	v_bfi_b32 v20, 0xffff, v83, v81
	v_add_f16_e32 v13, v13, v17
	v_sub_f16_e32 v16, v99, v50
	v_pk_add_f16 v14, v19, v14
	v_pk_add_f16 v9, v9, v10
	v_fma_f16 v105, v47, 0xb461, -v154
	v_bfi_b32 v18, 0xffff, v78, v75
	v_add_f16_e32 v13, v16, v13
	v_sub_f16_e32 v16, v69, v49
	v_mul_u32_u24_e32 v10, 0x44, v3
	v_pk_add_f16 v14, v20, v14
	v_pk_mul_f16 v19, 0xbbdd, v48 op_sel_hi:[0,1]
	v_pk_add_f16 v7, v9, v7
	v_add_f16_e32 v102, v105, v102
	v_fma_f16 v105, v45, 0x3b76, -v164
	v_bfi_b32 v51, 0xffff, v82, v79
	v_add_f16_e32 v13, v16, v13
	v_add3_u32 v9, 0, v10, v24
	v_pk_add_f16 v10, v18, v14
	v_pk_fma_f16 v14, 0xb1e1, v46, v19 op_sel:[0,0,1] op_sel_hi:[0,1,0] neg_lo:[0,1,0] neg_hi:[0,1,0]
	v_pk_mul_f16 v16, 0x3b76, v47 op_sel_hi:[0,1]
	v_pk_add_f16 v7, v7, v8
	v_pk_fma_f16 v8, 0xb1e1, v46, v19 op_sel:[0,0,1] op_sel_hi:[0,1,0]
	v_fmac_f16_e32 v141, 0x3964, v42
	v_add_f16_e32 v102, v105, v102
	v_fma_f16 v105, v43, 0xbacd, -v166
	v_fma_f16 v134, v47, 0xbacd, -v139
	v_bfi_b32 v52, 0xffff, v86, v84
	v_pk_add_f16 v10, v51, v10
	v_pk_add_f16 v14, v94, v14
	v_pk_fma_f16 v18, 0x35c8, v44, v16 op_sel:[0,0,1] op_sel_hi:[0,1,0] neg_lo:[0,1,0] neg_hi:[0,1,0]
	v_pk_mul_f16 v19, 0xbacd, v45 op_sel_hi:[0,1]
	v_pk_add_f16 v8, v94, v8
	v_pk_fma_f16 v16, 0x35c8, v44, v16 op_sel:[0,0,1] op_sel_hi:[0,1,0]
	v_add_f16_e32 v110, v141, v110
	v_fmac_f16_e32 v144, 0xbb29, v40
	v_add_f16_e32 v102, v105, v102
	v_fma_f16 v105, v41, 0x2de8, -v147
	v_add_f16_e32 v132, v134, v132
	v_fma_f16 v134, v45, 0x39e9, -v146
	v_bfi_b32 v17, 0xffff, v87, v85
	v_pk_add_f16 v10, v52, v10
	v_pk_add_f16 v14, v18, v14
	v_pk_fma_f16 v18, 0xb836, v42, v19 op_sel:[0,0,1] op_sel_hi:[0,1,0] neg_lo:[0,1,0] neg_hi:[0,1,0]
	v_pk_mul_f16 v20, 0x39e9, v43 op_sel_hi:[0,1]
	v_pk_add_f16 v8, v16, v8
	v_pk_fma_f16 v16, 0xb836, v42, v19 op_sel:[0,0,1] op_sel_hi:[0,1,0]
	v_add_f16_e32 v110, v144, v110
	v_fmac_f16_e32 v128, 0xb1e1, v37
	v_add_f16_e32 v102, v105, v102
	v_fma_f16 v105, v39, 0x39e9, -v143
	v_add_f16_e32 v132, v134, v132
	v_fma_f16 v134, v43, 0x3722, -v148
	v_bfi_b32 v11, 0xffff, v89, v88
	v_pk_add_f16 v10, v17, v10
	v_pk_add_f16 v14, v18, v14
	v_pk_fma_f16 v17, 0x3964, v40, v20 op_sel:[0,0,1] op_sel_hi:[0,1,0] neg_lo:[0,1,0] neg_hi:[0,1,0]
	v_pk_mul_f16 v18, 0xb8d2, v41 op_sel_hi:[0,1]
	v_pk_add_f16 v8, v16, v8
	v_pk_fma_f16 v16, 0x3964, v40, v20 op_sel:[0,0,1] op_sel_hi:[0,1,0]
	v_fmac_f16_e32 v122, 0xbb29, v37
	v_fmac_f16_e32 v159, 0x3bf7, v37
	v_add_f16_e32 v110, v128, v110
	v_add_f16_e32 v102, v105, v102
	v_fma_f16 v105, v38, 0xbbdd, -v168
	v_add_f16_e32 v128, v134, v132
	v_fma_f16 v132, v41, 0xbbdd, -v145
	v_pk_add_f16 v10, v11, v10
	v_pk_add_f16 v11, v17, v14
	v_pk_fma_f16 v14, 0xba62, v37, v18 op_sel:[0,0,1] op_sel_hi:[0,1,0] neg_lo:[0,1,0] neg_hi:[0,1,0]
	v_pk_mul_f16 v17, 0x3722, v39 op_sel_hi:[0,1]
	v_pk_add_f16 v8, v16, v8
	v_pk_fma_f16 v16, 0xba62, v37, v18 op_sel:[0,0,1] op_sel_hi:[0,1,0]
	v_add_f16_e32 v118, v122, v118
	v_fmac_f16_e32 v123, 0xb836, v35
	v_add_f16_e32 v106, v159, v106
	v_fmac_f16_e32 v165, 0xb964, v35
	v_fmac_f16_e32 v150, 0x3bf7, v35
	v_add_f16_e32 v102, v105, v102
	v_fma_f16 v105, v36, 0x3722, -v174
	v_add_f16_e32 v128, v132, v128
	v_fma_f16 v132, v39, 0x2de8, -v151
	v_pk_add_f16 v11, v14, v11
	v_pk_fma_f16 v14, 0x3b29, v35, v17 op_sel:[0,0,1] op_sel_hi:[0,1,0] neg_lo:[0,1,0] neg_hi:[0,1,0]
	v_pk_mul_f16 v18, 0xb461, v38 op_sel_hi:[0,1]
	v_pk_add_f16 v8, v16, v8
	v_pk_fma_f16 v16, 0x3b29, v35, v17 op_sel:[0,0,1] op_sel_hi:[0,1,0]
	v_add_f16_e32 v118, v123, v118
	v_fmac_f16_e32 v125, 0x3a62, v34
	v_fmac_f16_e32 v103, 0xbbf7, v34
	v_add_f16_e32 v106, v165, v106
	v_fmac_f16_e32 v167, 0xb1e1, v34
	v_add_f16_e32 v110, v150, v110
	;; [unrolled: 2-line block ×3, first 2 shown]
	v_add_f16_e32 v105, v132, v128
	v_fma_f16 v128, v38, 0x3b76, -v153
	v_alignbit_b32 v12, v12, v10, 16
	v_pack_b32_f16 v10, v13, v10
	v_pk_add_f16 v11, v14, v11
	v_pk_fma_f16 v13, 0xbbb2, v34, v18 op_sel:[0,0,1] op_sel_hi:[0,1,0] neg_lo:[0,1,0] neg_hi:[0,1,0]
	v_pk_mul_f16 v14, 0x2de8, v36 op_sel_hi:[0,1]
	v_pk_add_f16 v8, v16, v8
	v_pk_fma_f16 v16, 0xbbb2, v34, v18 op_sel:[0,0,1] op_sel_hi:[0,1,0]
	v_add_f16_e32 v101, v125, v118
	v_fmac_f16_e32 v136, 0x3964, v33
	v_add_f16_e32 v90, v103, v90
	v_fmac_f16_e32 v113, 0xb836, v33
	;; [unrolled: 2-line block ×4, first 2 shown]
	v_add_f16_e32 v105, v128, v105
	v_fma_f16 v128, v36, 0xb8d2, -v158
	v_pk_add_f16 v11, v13, v11
	v_pk_fma_f16 v13, 0x3bf7, v33, v14 op_sel:[0,0,1] op_sel_hi:[0,1,0] neg_lo:[0,1,0] neg_hi:[0,1,0]
	v_pk_add_f16 v8, v16, v8
	v_pk_fma_f16 v14, 0x3bf7, v33, v14 op_sel:[0,0,1] op_sel_hi:[0,1,0]
	v_fmamk_f16 v181, v36, 0x3722, v174
	v_add_f16_e32 v98, v136, v101
	v_add_f16_e32 v54, v113, v90
	;; [unrolled: 1-line block ×5, first 2 shown]
	v_pk_add_f16 v11, v13, v11
	v_pk_add_f16 v8, v14, v8
	v_add_f16_e32 v127, v181, v127
	v_add_f16_e32 v170, v175, v170
	v_pack_b32_f16 v17, v91, v98
	v_pack_b32_f16 v15, v15, v54
	;; [unrolled: 1-line block ×5, first 2 shown]
	ds_write2_b32 v9, v10, v12 offset0:1 offset1:2
	ds_write2_b32 v9, v15, v17 offset0:3 offset1:4
	;; [unrolled: 1-line block ×3, first 2 shown]
	ds_write2_b32 v9, v7, v19 offset1:7
	v_alignbit_b32 v7, v11, v8, 16
	v_alignbit_b32 v8, v8, v11, 16
	v_pack_b32_f16 v10, v127, v107
	v_pack_b32_f16 v11, v170, v169
	;; [unrolled: 1-line block ×5, first 2 shown]
	v_perm_b32 v15, v26, v25, 0x5040100
	v_perm_b32 v16, v28, v27, 0x5040100
	ds_write2_b32 v9, v8, v7 offset0:8 offset1:9
	ds_write2_b32 v9, v11, v10 offset0:10 offset1:11
	;; [unrolled: 1-line block ×4, first 2 shown]
	ds_write_b32 v9, v16 offset:64
.LBB0_20:
	s_or_b32 exec_lo, exec_lo, s1
	v_add_nc_u32_e32 v7, 0x600, v4
	v_add_nc_u32_e32 v8, 0xe00, v4
	s_waitcnt lgkmcnt(0)
	s_barrier
	buffer_gl0_inv
	ds_read_b32 v33, v23
	ds_read2_b32 v[19:20], v31 offset0:16 offset1:101
	ds_read2_b32 v[11:12], v7 offset0:58 offset1:160
	;; [unrolled: 1-line block ×7, first 2 shown]
	v_cmp_gt_u32_e64 s0, 17, v3
                                        ; implicit-def: $vgpr32
                                        ; implicit-def: $vgpr29
                                        ; implicit-def: $vgpr30
                                        ; implicit-def: $vgpr22
                                        ; implicit-def: $vgpr31
                                        ; implicit-def: $vgpr21
	s_and_saveexec_b32 s1, s0
	s_cbranch_execz .LBB0_22
; %bb.21:
	ds_read_b32 v25, v4 offset:1020
	ds_read_b32 v27, v4 offset:2108
	;; [unrolled: 1-line block ×5, first 2 shown]
	s_waitcnt lgkmcnt(4)
	v_lshrrev_b32_e32 v26, 16, v25
	s_waitcnt lgkmcnt(3)
	v_lshrrev_b32_e32 v28, 16, v27
	;; [unrolled: 2-line block ×5, first 2 shown]
.LBB0_22:
	s_or_b32 exec_lo, exec_lo, s1
	v_and_b32_e32 v34, 0xff, v3
	v_add_nc_u16 v35, v3, 0x55
	v_add_nc_u16 v43, v3, 0xaa
	s_waitcnt lgkmcnt(6)
	v_lshrrev_b32_e32 v61, 16, v19
	s_waitcnt lgkmcnt(5)
	v_lshrrev_b32_e32 v62, 16, v12
	v_mul_lo_u16 v34, 0xf1, v34
	v_and_b32_e32 v37, 0xff, v35
	s_waitcnt lgkmcnt(4)
	v_lshrrev_b32_e32 v63, 16, v17
	s_waitcnt lgkmcnt(3)
	v_lshrrev_b32_e32 v64, 16, v10
	;; [unrolled: 2-line block ×3, first 2 shown]
	v_lshrrev_b16 v38, 12, v34
	v_mov_b32_e32 v34, 4
	v_lshrrev_b32_e32 v57, 16, v11
	v_lshrrev_b32_e32 v58, 16, v16
	;; [unrolled: 1-line block ×3, first 2 shown]
	v_mul_lo_u16 v36, v38, 17
	v_and_b32_e32 v67, 0xffff, v38
	v_mov_b32_e32 v38, 2
	v_lshrrev_b32_e32 v60, 16, v14
	v_lshrrev_b32_e32 v65, 16, v20
	v_sub_nc_u16 v51, v3, v36
	v_mul_lo_u16 v36, 0xf1, v37
	v_and_b32_e32 v37, 0xff, v43
	v_mad_u32_u24 v67, 0x154, v67, 0
	v_lshrrev_b32_e32 v66, 16, v15
	v_lshlrev_b32_sdwa v39, v34, v51 dst_sel:DWORD dst_unused:UNUSED_PAD src0_sel:DWORD src1_sel:BYTE_0
	v_lshrrev_b16 v52, 12, v36
	v_mul_lo_u16 v36, 0xf1, v37
	v_lshlrev_b32_sdwa v51, v38, v51 dst_sel:DWORD dst_unused:UNUSED_PAD src0_sel:DWORD src1_sel:BYTE_0
	v_lshrrev_b32_e32 v68, 16, v18
	global_load_dwordx4 v[39:42], v39, s[12:13]
	v_mul_lo_u16 v37, v52, 17
	v_lshrrev_b16 v53, 12, v36
	v_and_b32_e32 v52, 0xffff, v52
	v_add3_u32 v51, v67, v51, v24
	v_sub_nc_u16 v54, v35, v37
	v_mul_lo_u16 v35, v53, 17
	v_and_b32_e32 v53, 0xffff, v53
	v_mad_u32_u24 v52, 0x154, v52, 0
	v_lshrrev_b32_e32 v37, 16, v33
	v_lshlrev_b32_sdwa v36, v34, v54 dst_sel:DWORD dst_unused:UNUSED_PAD src0_sel:DWORD src1_sel:BYTE_0
	v_sub_nc_u16 v55, v43, v35
	v_mad_u32_u24 v53, 0x154, v53, 0
	v_lshlrev_b32_sdwa v54, v38, v54 dst_sel:DWORD dst_unused:UNUSED_PAD src0_sel:DWORD src1_sel:BYTE_0
	global_load_dwordx4 v[43:46], v36, s[12:13]
	v_lshlrev_b32_sdwa v35, v34, v55 dst_sel:DWORD dst_unused:UNUSED_PAD src0_sel:DWORD src1_sel:BYTE_0
	v_lshlrev_b32_sdwa v55, v38, v55 dst_sel:DWORD dst_unused:UNUSED_PAD src0_sel:DWORD src1_sel:BYTE_0
	v_add3_u32 v52, v52, v54, v24
	global_load_dwordx4 v[47:50], v35, s[12:13]
	v_add3_u32 v53, v53, v55, v24
	v_lshrrev_b32_e32 v36, 16, v7
	v_lshrrev_b32_e32 v35, 16, v8
	s_waitcnt vmcnt(0)
	s_barrier
	buffer_gl0_inv
	v_mul_f16_sdwa v54, v39, v61 dst_sel:DWORD dst_unused:UNUSED_PAD src0_sel:WORD_1 src1_sel:DWORD
	v_mul_f16_sdwa v55, v39, v19 dst_sel:DWORD dst_unused:UNUSED_PAD src0_sel:WORD_1 src1_sel:DWORD
	;; [unrolled: 1-line block ×8, first 2 shown]
	v_fma_f16 v19, v39, v19, -v54
	v_fmac_f16_e32 v55, v39, v61
	v_fma_f16 v12, v40, v12, -v67
	v_fmac_f16_e32 v69, v40, v62
	;; [unrolled: 2-line block ×4, first 2 shown]
	v_mul_f16_sdwa v39, v43, v65 dst_sel:DWORD dst_unused:UNUSED_PAD src0_sel:WORD_1 src1_sel:DWORD
	v_mul_f16_sdwa v41, v44, v66 dst_sel:DWORD dst_unused:UNUSED_PAD src0_sel:WORD_1 src1_sel:DWORD
	;; [unrolled: 1-line block ×5, first 2 shown]
	v_mul_f16_sdwa v62, v56, v46 dst_sel:DWORD dst_unused:UNUSED_PAD src0_sel:DWORD src1_sel:WORD_1
	v_mul_f16_sdwa v63, v13, v46 dst_sel:DWORD dst_unused:UNUSED_PAD src0_sel:DWORD src1_sel:WORD_1
	;; [unrolled: 1-line block ×10, first 2 shown]
	v_mul_f16_sdwa v40, v43, v20 dst_sel:DWORD dst_unused:UNUSED_PAD src0_sel:WORD_1 src1_sel:DWORD
	v_fma_f16 v20, v43, v20, -v39
	v_fma_f16 v15, v44, v15, -v41
	v_fmac_f16_e32 v42, v44, v66
	v_fma_f16 v18, v45, v18, -v54
	v_fmac_f16_e32 v61, v45, v68
	;; [unrolled: 2-line block ×7, first 2 shown]
	v_add_f16_e32 v39, v33, v19
	v_add_f16_e32 v41, v12, v17
	v_sub_f16_e32 v45, v19, v12
	v_sub_f16_e32 v46, v10, v17
	v_add_f16_e32 v47, v19, v10
	v_sub_f16_e32 v48, v12, v19
	v_sub_f16_e32 v49, v17, v10
	v_add_f16_e32 v50, v37, v55
	v_add_f16_e32 v54, v69, v71
	v_sub_f16_e32 v57, v55, v69
	v_sub_f16_e32 v58, v73, v71
	v_add_f16_e32 v59, v55, v73
	v_fmac_f16_e32 v40, v43, v65
	v_sub_f16_e32 v43, v55, v73
	v_sub_f16_e32 v55, v69, v55
	;; [unrolled: 1-line block ×6, first 2 shown]
	v_add_f16_e32 v12, v39, v12
	v_fma_f16 v39, -0.5, v41, v33
	v_add_f16_e32 v41, v45, v46
	v_fmac_f16_e32 v33, -0.5, v47
	v_add_f16_e32 v45, v48, v49
	v_add_f16_e32 v46, v50, v69
	v_fma_f16 v47, -0.5, v54, v37
	v_add_f16_e32 v48, v57, v58
	v_fmac_f16_e32 v37, -0.5, v59
	v_add_f16_e32 v50, v7, v20
	v_add_f16_e32 v54, v15, v18
	v_sub_f16_e32 v58, v20, v15
	v_sub_f16_e32 v59, v13, v18
	v_add_f16_e32 v66, v42, v61
	v_add_f16_e32 v49, v55, v60
	v_add_f16_e32 v60, v20, v13
	v_add_f16_e32 v74, v40, v63
	v_sub_f16_e32 v62, v15, v20
	v_sub_f16_e32 v64, v18, v13
	v_add_f16_e32 v65, v36, v40
	v_sub_f16_e32 v69, v40, v42
	v_sub_f16_e32 v70, v63, v61
	v_add_f16_e32 v78, v8, v11
	v_add_f16_e32 v79, v16, v9
	;; [unrolled: 1-line block ×6, first 2 shown]
	v_sub_f16_e32 v55, v40, v63
	v_sub_f16_e32 v20, v20, v13
	;; [unrolled: 1-line block ×3, first 2 shown]
	v_add_f16_e32 v12, v12, v17
	v_fmamk_f16 v17, v43, 0x3b9c, v39
	v_fmamk_f16 v94, v44, 0xbb9c, v33
	v_fmac_f16_e32 v33, 0x3b9c, v44
	v_add_f16_e32 v46, v46, v71
	v_fmamk_f16 v71, v19, 0xbb9c, v47
	v_add_f16_e32 v15, v50, v15
	v_fma_f16 v50, -0.5, v54, v7
	v_add_f16_e32 v54, v58, v59
	v_fma_f16 v59, -0.5, v66, v36
	v_sub_f16_e32 v57, v42, v61
	v_fmac_f16_e32 v39, 0xbb9c, v43
	v_fmamk_f16 v95, v56, 0x3b9c, v37
	v_fmac_f16_e32 v37, 0xbb9c, v56
	v_fma_f16 v7, -0.5, v60, v7
	v_fmac_f16_e32 v36, -0.5, v74
	v_fmac_f16_e32 v47, 0x3b9c, v19
	v_sub_f16_e32 v40, v42, v40
	v_sub_f16_e32 v80, v67, v77
	;; [unrolled: 1-line block ×6, first 2 shown]
	v_add_f16_e32 v58, v62, v64
	v_add_f16_e32 v42, v65, v42
	v_add_f16_e32 v60, v69, v70
	v_add_f16_e32 v16, v78, v16
	v_fma_f16 v62, -0.5, v79, v8
	v_fma_f16 v69, -0.5, v88, v35
	v_sub_f16_e32 v81, v72, v75
	v_fmac_f16_e32 v8, -0.5, v84
	v_add_f16_e32 v66, v87, v72
	v_fmac_f16_e32 v35, -0.5, v92
	v_fmac_f16_e32 v17, 0x38b4, v44
	v_fmac_f16_e32 v94, 0x38b4, v43
	;; [unrolled: 1-line block ×4, first 2 shown]
	v_add_f16_e32 v15, v15, v18
	v_fmamk_f16 v18, v55, 0x3b9c, v50
	v_fmamk_f16 v43, v20, 0xbb9c, v59
	v_sub_f16_e32 v76, v61, v63
	v_fmac_f16_e32 v39, 0xb8b4, v44
	v_fmac_f16_e32 v95, 0xb8b4, v19
	;; [unrolled: 1-line block ×3, first 2 shown]
	v_fmamk_f16 v19, v57, 0xbb9c, v7
	v_fmac_f16_e32 v7, 0x3b9c, v57
	v_fmamk_f16 v44, v68, 0x3b9c, v36
	v_fmac_f16_e32 v36, 0xbb9c, v68
	v_fmac_f16_e32 v47, 0x38b4, v56
	;; [unrolled: 1-line block ×4, first 2 shown]
	v_sub_f16_e32 v83, v14, v9
	v_sub_f16_e32 v86, v9, v14
	;; [unrolled: 1-line block ×4, first 2 shown]
	v_add_f16_e32 v42, v42, v61
	v_add_f16_e32 v9, v16, v9
	v_fmamk_f16 v16, v80, 0x3b9c, v62
	v_fmamk_f16 v61, v11, 0xbb9c, v69
	v_sub_f16_e32 v67, v72, v67
	v_sub_f16_e32 v93, v75, v77
	v_add_f16_e32 v10, v12, v10
	v_add_f16_e32 v12, v46, v73
	v_fmamk_f16 v46, v81, 0xbb9c, v8
	v_fmac_f16_e32 v8, 0x3b9c, v81
	v_add_f16_e32 v56, v66, v75
	v_fmamk_f16 v66, v89, 0x3b9c, v35
	v_fmac_f16_e32 v35, 0xbb9c, v89
	v_fmac_f16_e32 v62, 0xbb9c, v80
	;; [unrolled: 1-line block ×7, first 2 shown]
	v_add_f16_e32 v40, v40, v76
	v_fmac_f16_e32 v94, 0x34f2, v45
	v_fmac_f16_e32 v33, 0x34f2, v45
	;; [unrolled: 1-line block ×12, first 2 shown]
	v_add_f16_e32 v64, v82, v83
	v_add_f16_e32 v70, v90, v91
	v_fmac_f16_e32 v16, 0x38b4, v81
	v_fmac_f16_e32 v61, 0xb8b4, v89
	v_add_f16_e32 v65, v85, v86
	v_add_f16_e32 v67, v67, v93
	v_fmac_f16_e32 v46, 0x38b4, v80
	v_fmac_f16_e32 v8, 0xb8b4, v80
	;; [unrolled: 1-line block ×4, first 2 shown]
	v_add_f16_e32 v13, v15, v13
	v_add_f16_e32 v15, v42, v63
	v_fmac_f16_e32 v62, 0xb8b4, v81
	v_fmac_f16_e32 v69, 0x38b4, v89
	v_pack_b32_f16 v10, v10, v12
	v_fmac_f16_e32 v18, 0x34f2, v54
	v_fmac_f16_e32 v43, 0x34f2, v60
	v_pack_b32_f16 v11, v17, v71
	v_fmac_f16_e32 v19, 0x34f2, v58
	v_fmac_f16_e32 v7, 0x34f2, v58
	;; [unrolled: 1-line block ×4, first 2 shown]
	v_pack_b32_f16 v12, v94, v95
	v_pack_b32_f16 v17, v33, v37
	v_fmac_f16_e32 v50, 0x34f2, v54
	v_fmac_f16_e32 v59, 0x34f2, v60
	v_pack_b32_f16 v20, v39, v47
	v_add_f16_e32 v9, v9, v14
	v_add_f16_e32 v14, v56, v77
	v_fmac_f16_e32 v16, 0x34f2, v64
	v_fmac_f16_e32 v61, 0x34f2, v70
	;; [unrolled: 1-line block ×8, first 2 shown]
	v_pack_b32_f16 v13, v13, v15
	ds_write2_b32 v51, v10, v11 offset1:17
	ds_write2_b32 v51, v12, v17 offset0:34 offset1:51
	ds_write_b32 v51, v20 offset:272
	v_pack_b32_f16 v10, v18, v43
	v_pack_b32_f16 v11, v19, v44
	;; [unrolled: 1-line block ×9, first 2 shown]
	ds_write2_b32 v52, v13, v10 offset1:17
	ds_write2_b32 v52, v11, v7 offset0:34 offset1:51
	ds_write_b32 v52, v12 offset:272
	ds_write2_b32 v53, v9, v14 offset1:17
	ds_write2_b32 v53, v15, v8 offset0:34 offset1:51
	ds_write_b32 v53, v16 offset:272
	s_and_saveexec_b32 s1, s0
	s_cbranch_execz .LBB0_24
; %bb.23:
	v_add_nc_u32_e32 v7, 0xff, v3
	v_mov_b32_e32 v8, 0xf0f1
	v_mul_u32_u24_sdwa v8, v7, v8 dst_sel:DWORD dst_unused:UNUSED_PAD src0_sel:WORD_0 src1_sel:DWORD
	v_lshrrev_b32_e32 v8, 20, v8
	v_mul_lo_u16 v8, v8, 17
	v_sub_nc_u16 v11, v7, v8
	v_lshlrev_b32_sdwa v7, v34, v11 dst_sel:DWORD dst_unused:UNUSED_PAD src0_sel:DWORD src1_sel:WORD_0
	v_lshlrev_b32_sdwa v11, v38, v11 dst_sel:DWORD dst_unused:UNUSED_PAD src0_sel:DWORD src1_sel:WORD_0
	global_load_dwordx4 v[7:10], v7, s[12:13]
	v_add3_u32 v11, 0, v11, v24
	v_add_nc_u32_e32 v12, 0x1200, v11
	v_add_nc_u32_e32 v13, 0x1400, v11
	s_waitcnt vmcnt(0)
	v_mul_f16_sdwa v14, v29, v10 dst_sel:DWORD dst_unused:UNUSED_PAD src0_sel:DWORD src1_sel:WORD_1
	v_mul_f16_sdwa v15, v22, v9 dst_sel:DWORD dst_unused:UNUSED_PAD src0_sel:DWORD src1_sel:WORD_1
	;; [unrolled: 1-line block ×8, first 2 shown]
	v_fmac_f16_e32 v14, v32, v10
	v_fmac_f16_e32 v15, v30, v9
	;; [unrolled: 1-line block ×4, first 2 shown]
	v_fma_f16 v7, v27, v7, -v18
	v_fma_f16 v8, v21, v8, -v19
	;; [unrolled: 1-line block ×4, first 2 shown]
	v_add_f16_e32 v18, v26, v17
	v_add_f16_e32 v19, v25, v7
	;; [unrolled: 1-line block ×6, first 2 shown]
	v_sub_f16_e32 v20, v16, v17
	v_sub_f16_e32 v21, v15, v14
	;; [unrolled: 1-line block ×10, first 2 shown]
	v_add_f16_e32 v16, v18, v16
	v_add_f16_e32 v8, v19, v8
	v_fma_f16 v19, -0.5, v24, v26
	v_fmac_f16_e32 v26, -0.5, v30
	v_fma_f16 v24, -0.5, v33, v25
	v_fmac_f16_e32 v25, -0.5, v36
	v_sub_f16_e32 v35, v10, v9
	v_add_f16_e32 v18, v20, v21
	v_add_f16_e32 v20, v28, v29
	;; [unrolled: 1-line block ×3, first 2 shown]
	v_fmamk_f16 v16, v22, 0x3b9c, v26
	v_fmac_f16_e32 v26, 0xbb9c, v22
	v_fmamk_f16 v29, v17, 0xbb9c, v25
	v_fmac_f16_e32 v25, 0x3b9c, v17
	v_sub_f16_e32 v32, v9, v10
	v_add_f16_e32 v8, v8, v9
	v_fmamk_f16 v9, v27, 0xbb9c, v19
	v_fmac_f16_e32 v19, 0x3b9c, v27
	v_fmamk_f16 v28, v34, 0x3b9c, v24
	v_fmac_f16_e32 v24, 0xbb9c, v34
	v_add_f16_e32 v7, v7, v35
	v_fmac_f16_e32 v26, 0xb8b4, v27
	v_fmac_f16_e32 v25, 0x38b4, v34
	v_add_f16_e32 v21, v31, v32
	v_fmac_f16_e32 v9, 0x38b4, v22
	v_fmac_f16_e32 v19, 0xb8b4, v22
	;; [unrolled: 1-line block ×6, first 2 shown]
	v_add_f16_e32 v14, v15, v14
	v_add_f16_e32 v8, v8, v10
	v_fmac_f16_e32 v26, 0x34f2, v20
	v_fmac_f16_e32 v25, 0x34f2, v7
	v_fmac_f16_e32 v9, 0x34f2, v18
	v_fmac_f16_e32 v19, 0x34f2, v18
	v_fmac_f16_e32 v24, 0x34f2, v21
	v_fmac_f16_e32 v28, 0x34f2, v21
	v_fmac_f16_e32 v16, 0x34f2, v20
	v_fmac_f16_e32 v29, 0x34f2, v7
	v_pack_b32_f16 v7, v8, v14
	v_pack_b32_f16 v8, v25, v26
	;; [unrolled: 1-line block ×5, first 2 shown]
	ds_write2_b32 v12, v7, v8 offset0:123 offset1:140
	ds_write2_b32 v13, v10, v9 offset0:29 offset1:46
	ds_write_b32 v11, v14 offset:5372
.LBB0_24:
	s_or_b32 exec_lo, exec_lo, s1
	v_mul_u32_u24_e32 v7, 15, v3
	s_waitcnt lgkmcnt(0)
	s_barrier
	buffer_gl0_inv
	v_add_nc_u32_e32 v24, 0x200, v4
	v_lshlrev_b32_e32 v19, 2, v7
	v_add_nc_u32_e32 v39, 0x800, v4
	v_add_nc_u32_e32 v30, 0xa00, v4
	;; [unrolled: 1-line block ×4, first 2 shown]
	s_clause 0x3
	global_load_dwordx4 v[7:10], v19, s[12:13] offset:272
	global_load_dwordx4 v[11:14], v19, s[12:13] offset:288
	;; [unrolled: 1-line block ×3, first 2 shown]
	global_load_dwordx3 v[19:21], v19, s[12:13] offset:320
	v_add_nc_u32_e32 v41, 0x1000, v4
	ds_read_b32 v37, v23
	ds_read_b32 v38, v4 offset:5100
	ds_read2_b32 v[22:23], v4 offset0:85 offset1:170
	ds_read2_b32 v[24:25], v24 offset0:127 offset1:212
	;; [unrolled: 1-line block ×7, first 2 shown]
	v_add_nc_u32_e32 v42, 0x600, v4
	s_waitcnt vmcnt(0) lgkmcnt(0)
	s_barrier
	buffer_gl0_inv
	v_add_nc_u32_e32 v43, 0xe00, v4
	v_lshrrev_b32_e32 v47, 16, v37
	v_lshrrev_b32_e32 v44, 16, v38
	;; [unrolled: 1-line block ×16, first 2 shown]
	v_mul_f16_sdwa v60, v7, v45 dst_sel:DWORD dst_unused:UNUSED_PAD src0_sel:WORD_1 src1_sel:DWORD
	v_mul_f16_sdwa v61, v7, v22 dst_sel:DWORD dst_unused:UNUSED_PAD src0_sel:WORD_1 src1_sel:DWORD
	v_mul_f16_sdwa v62, v8, v46 dst_sel:DWORD dst_unused:UNUSED_PAD src0_sel:WORD_1 src1_sel:DWORD
	v_mul_f16_sdwa v63, v8, v23 dst_sel:DWORD dst_unused:UNUSED_PAD src0_sel:WORD_1 src1_sel:DWORD
	v_mul_f16_sdwa v64, v9, v59 dst_sel:DWORD dst_unused:UNUSED_PAD src0_sel:WORD_1 src1_sel:DWORD
	v_mul_f16_sdwa v65, v9, v24 dst_sel:DWORD dst_unused:UNUSED_PAD src0_sel:WORD_1 src1_sel:DWORD
	v_mul_f16_sdwa v66, v48, v10 dst_sel:DWORD dst_unused:UNUSED_PAD src0_sel:DWORD src1_sel:WORD_1
	v_mul_f16_sdwa v67, v25, v10 dst_sel:DWORD dst_unused:UNUSED_PAD src0_sel:DWORD src1_sel:WORD_1
	;; [unrolled: 1-line block ×24, first 2 shown]
	v_fma_f16 v22, v7, v22, -v60
	v_fmac_f16_e32 v61, v7, v45
	v_fma_f16 v7, v8, v23, -v62
	v_fmac_f16_e32 v63, v8, v46
	v_fma_f16 v8, v9, v24, -v64
	v_fmac_f16_e32 v65, v9, v59
	v_fma_f16 v9, v25, v10, -v66
	v_fmac_f16_e32 v67, v48, v10
	v_fma_f16 v10, v26, v11, -v68
	v_fmac_f16_e32 v69, v49, v11
	v_fma_f16 v11, v27, v12, -v70
	v_fmac_f16_e32 v71, v50, v12
	v_fma_f16 v12, v28, v13, -v72
	v_fmac_f16_e32 v73, v51, v13
	v_fma_f16 v13, v29, v14, -v74
	v_fmac_f16_e32 v75, v52, v14
	v_fma_f16 v14, v30, v15, -v76
	v_fmac_f16_e32 v77, v53, v15
	v_fma_f16 v15, v31, v16, -v78
	v_fmac_f16_e32 v79, v54, v16
	v_fma_f16 v16, v32, v17, -v80
	v_fmac_f16_e32 v81, v55, v17
	v_fma_f16 v17, v33, v18, -v82
	v_fmac_f16_e32 v83, v56, v18
	v_fma_f16 v18, v34, v19, -v84
	v_fmac_f16_e32 v85, v57, v19
	v_fma_f16 v19, v35, v20, -v86
	v_fmac_f16_e32 v87, v58, v20
	v_fma_f16 v20, v38, v21, -v88
	v_fmac_f16_e32 v89, v44, v21
	v_sub_f16_e32 v13, v37, v13
	v_sub_f16_e32 v21, v47, v75
	;; [unrolled: 1-line block ×16, first 2 shown]
	v_fma_f16 v30, v37, 2.0, -v13
	v_fma_f16 v31, v47, 2.0, -v21
	;; [unrolled: 1-line block ×16, first 2 shown]
	v_sub_f16_e32 v23, v13, v23
	v_add_f16_e32 v17, v21, v17
	v_sub_f16_e32 v25, v15, v25
	v_add_f16_e32 v19, v24, v19
	;; [unrolled: 2-line block ×4, first 2 shown]
	v_sub_f16_e32 v9, v30, v9
	v_sub_f16_e32 v32, v31, v32
	v_fma_f16 v13, v13, 2.0, -v23
	v_fma_f16 v21, v21, 2.0, -v17
	v_sub_f16_e32 v11, v7, v11
	v_sub_f16_e32 v34, v33, v34
	v_fma_f16 v15, v15, 2.0, -v25
	v_fma_f16 v24, v24, 2.0, -v19
	;; [unrolled: 4-line block ×4, first 2 shown]
	v_fmamk_f16 v45, v25, 0x39a8, v23
	v_fmamk_f16 v46, v19, 0x39a8, v17
	;; [unrolled: 1-line block ×4, first 2 shown]
	v_fma_f16 v30, v30, 2.0, -v9
	v_fma_f16 v31, v31, 2.0, -v32
	;; [unrolled: 1-line block ×8, first 2 shown]
	v_fmamk_f16 v49, v15, 0xb9a8, v13
	v_fmamk_f16 v50, v24, 0xb9a8, v21
	v_fmac_f16_e32 v45, 0xb9a8, v19
	v_fmac_f16_e32 v46, 0x39a8, v25
	v_fmamk_f16 v19, v16, 0xb9a8, v14
	v_fmamk_f16 v25, v28, 0xb9a8, v26
	v_sub_f16_e32 v34, v9, v34
	v_add_f16_e32 v11, v32, v11
	v_sub_f16_e32 v44, v10, v44
	v_add_f16_e32 v12, v37, v12
	v_fmac_f16_e32 v47, 0xb9a8, v20
	v_fmac_f16_e32 v48, 0x39a8, v29
	v_sub_f16_e32 v7, v30, v7
	v_sub_f16_e32 v20, v31, v33
	v_fmac_f16_e32 v49, 0xb9a8, v24
	v_fmac_f16_e32 v50, 0x39a8, v15
	v_sub_f16_e32 v8, v22, v8
	v_sub_f16_e32 v24, v35, v38
	v_fmac_f16_e32 v19, 0xb9a8, v28
	v_fmac_f16_e32 v25, 0x39a8, v16
	v_fma_f16 v9, v9, 2.0, -v34
	v_fma_f16 v15, v32, 2.0, -v11
	;; [unrolled: 1-line block ×8, first 2 shown]
	v_fmamk_f16 v28, v44, 0x39a8, v34
	v_fmamk_f16 v29, v12, 0x39a8, v11
	;; [unrolled: 1-line block ×4, first 2 shown]
	v_fma_f16 v30, v30, 2.0, -v7
	v_fma_f16 v31, v31, 2.0, -v20
	;; [unrolled: 1-line block ×8, first 2 shown]
	v_fmamk_f16 v37, v10, 0xb9a8, v9
	v_fmamk_f16 v38, v16, 0xb9a8, v15
	;; [unrolled: 1-line block ×6, first 2 shown]
	v_sub_f16_e32 v24, v7, v24
	v_add_f16_e32 v8, v20, v8
	v_fmac_f16_e32 v28, 0xb9a8, v12
	v_fmac_f16_e32 v29, 0x39a8, v44
	;; [unrolled: 1-line block ×4, first 2 shown]
	v_sub_f16_e32 v12, v30, v22
	v_sub_f16_e32 v22, v31, v35
	v_fmamk_f16 v35, v14, 0xbb64, v13
	v_fmamk_f16 v44, v26, 0xbb64, v21
	v_fmac_f16_e32 v37, 0xb9a8, v16
	v_fmac_f16_e32 v38, 0x39a8, v10
	;; [unrolled: 1-line block ×6, first 2 shown]
	v_fma_f16 v7, v7, 2.0, -v24
	v_fma_f16 v10, v20, 2.0, -v8
	;; [unrolled: 1-line block ×6, first 2 shown]
	v_pack_b32_f16 v8, v24, v8
	v_pack_b32_f16 v20, v28, v29
	;; [unrolled: 1-line block ×3, first 2 shown]
	v_fmac_f16_e32 v35, 0xb61f, v26
	v_fmac_f16_e32 v44, 0x361f, v14
	v_fma_f16 v9, v9, 2.0, -v37
	v_fma_f16 v14, v15, 2.0, -v38
	;; [unrolled: 1-line block ×6, first 2 shown]
	v_pack_b32_f16 v7, v7, v10
	v_pack_b32_f16 v10, v16, v11
	;; [unrolled: 1-line block ×3, first 2 shown]
	v_fma_f16 v25, v30, 2.0, -v12
	v_fma_f16 v27, v31, 2.0, -v22
	ds_write2_b32 v41, v20, v24 offset0:166 offset1:251
	v_fma_f16 v13, v13, 2.0, -v35
	v_fma_f16 v20, v21, 2.0, -v44
	v_pack_b32_f16 v16, v37, v38
	v_pack_b32_f16 v18, v51, v52
	;; [unrolled: 1-line block ×7, first 2 shown]
	ds_write2_b32 v42, v10, v11 offset0:126 offset1:211
	v_pack_b32_f16 v10, v35, v44
	v_pack_b32_f16 v21, v25, v27
	;; [unrolled: 1-line block ×3, first 2 shown]
	ds_write2_b32 v40, v16, v18 offset0:82 offset1:167
	ds_write2_b32 v43, v8, v19 offset0:124 offset1:209
	;; [unrolled: 1-line block ×5, first 2 shown]
	ds_write2_b32 v4, v21, v11 offset1:85
	s_waitcnt lgkmcnt(0)
	s_barrier
	buffer_gl0_inv
	s_and_saveexec_b32 s0, vcc_lo
	s_cbranch_execz .LBB0_26
; %bb.25:
	v_mul_lo_u32 v7, s3, v5
	v_mul_lo_u32 v8, s2, v6
	v_mad_u64_u32 v[5:6], null, s2, v5, 0
	v_lshl_add_u32 v19, v3, 2, v0
	v_mov_b32_e32 v4, 0
	v_lshlrev_b64 v[0:1], 2, v[1:2]
	v_add_nc_u32_e32 v9, 0xaa, v3
	ds_read2_b32 v[11:12], v19 offset1:85
	v_add3_u32 v6, v6, v8, v7
	v_add_nc_u32_e32 v7, 0x55, v3
	v_mov_b32_e32 v8, v4
	ds_read2_b32 v[15:16], v19 offset0:170 offset1:255
	v_lshlrev_b64 v[13:14], 2, v[3:4]
	v_lshlrev_b64 v[5:6], 2, v[5:6]
	v_mov_b32_e32 v10, v4
	v_mov_b32_e32 v18, v4
	v_add_co_u32 v2, vcc_lo, s10, v5
	v_add_co_ci_u32_e32 v17, vcc_lo, s11, v6, vcc_lo
	v_lshlrev_b64 v[5:6], 2, v[7:8]
	v_add_co_u32 v20, vcc_lo, v2, v0
	v_add_co_ci_u32_e32 v21, vcc_lo, v17, v1, vcc_lo
	v_lshlrev_b64 v[0:1], 2, v[9:10]
	v_add_co_u32 v7, vcc_lo, v20, v13
	v_add_co_ci_u32_e32 v8, vcc_lo, v21, v14, vcc_lo
	v_add_co_u32 v5, vcc_lo, v20, v5
	v_add_co_ci_u32_e32 v6, vcc_lo, v21, v6, vcc_lo
	;; [unrolled: 2-line block ×3, first 2 shown]
	v_add_nc_u32_e32 v9, 0xff, v3
	v_add_nc_u32_e32 v2, 0x400, v19
	s_waitcnt lgkmcnt(1)
	global_store_dword v[7:8], v11, off
	global_store_dword v[5:6], v12, off
	s_waitcnt lgkmcnt(0)
	global_store_dword v[0:1], v15, off
	v_add_nc_u32_e32 v12, 0x600, v19
	v_add_nc_u32_e32 v5, 0x154, v3
	v_mov_b32_e32 v6, v4
	v_lshlrev_b64 v[0:1], 2, v[9:10]
	ds_read2_b32 v[9:10], v2 offset0:84 offset1:169
	v_add_nc_u32_e32 v7, 0x1a9, v3
	v_mov_b32_e32 v8, v4
	ds_read2_b32 v[13:14], v12 offset0:126 offset1:211
	v_lshlrev_b64 v[5:6], 2, v[5:6]
	v_add_nc_u32_e32 v11, 0x1fe, v3
	v_mov_b32_e32 v12, v4
	v_add_co_u32 v0, vcc_lo, v20, v0
	v_lshlrev_b64 v[7:8], 2, v[7:8]
	v_add_co_ci_u32_e32 v1, vcc_lo, v21, v1, vcc_lo
	v_add_co_u32 v5, vcc_lo, v20, v5
	v_lshlrev_b64 v[11:12], 2, v[11:12]
	v_add_co_ci_u32_e32 v6, vcc_lo, v21, v6, vcc_lo
	v_add_co_u32 v7, vcc_lo, v20, v7
	v_add_co_ci_u32_e32 v8, vcc_lo, v21, v8, vcc_lo
	v_add_co_u32 v11, vcc_lo, v20, v11
	v_add_co_ci_u32_e32 v12, vcc_lo, v21, v12, vcc_lo
	v_add_nc_u32_e32 v17, 0x253, v3
	v_add_nc_u32_e32 v2, 0x800, v19
	global_store_dword v[0:1], v16, off
	s_waitcnt lgkmcnt(1)
	global_store_dword v[5:6], v9, off
	global_store_dword v[7:8], v10, off
	s_waitcnt lgkmcnt(0)
	global_store_dword v[11:12], v13, off
	v_add_nc_u32_e32 v12, 0xc00, v19
	v_add_nc_u32_e32 v5, 0x2a8, v3
	v_mov_b32_e32 v6, v4
	v_lshlrev_b64 v[0:1], 2, v[17:18]
	ds_read2_b32 v[9:10], v2 offset0:168 offset1:253
	v_add_nc_u32_e32 v7, 0x2fd, v3
	v_mov_b32_e32 v8, v4
	ds_read2_b32 v[15:16], v12 offset0:82 offset1:167
	v_lshlrev_b64 v[5:6], 2, v[5:6]
	v_add_nc_u32_e32 v11, 0x352, v3
	v_mov_b32_e32 v12, v4
	v_add_co_u32 v0, vcc_lo, v20, v0
	v_lshlrev_b64 v[7:8], 2, v[7:8]
	v_add_co_ci_u32_e32 v1, vcc_lo, v21, v1, vcc_lo
	v_add_co_u32 v5, vcc_lo, v20, v5
	v_lshlrev_b64 v[11:12], 2, v[11:12]
	v_add_co_ci_u32_e32 v6, vcc_lo, v21, v6, vcc_lo
	v_add_co_u32 v7, vcc_lo, v20, v7
	v_add_co_ci_u32_e32 v8, vcc_lo, v21, v8, vcc_lo
	v_add_co_u32 v11, vcc_lo, v20, v11
	v_add_nc_u32_e32 v2, 0xe00, v19
	v_add_nc_u32_e32 v17, 0x3a7, v3
	v_add_co_ci_u32_e32 v12, vcc_lo, v21, v12, vcc_lo
	global_store_dword v[0:1], v14, off
	s_waitcnt lgkmcnt(1)
	global_store_dword v[5:6], v9, off
	global_store_dword v[7:8], v10, off
	s_waitcnt lgkmcnt(0)
	global_store_dword v[11:12], v15, off
	v_add_nc_u32_e32 v5, 0x3fc, v3
	v_mov_b32_e32 v6, v4
	ds_read2_b32 v[9:10], v2 offset0:124 offset1:209
	v_add_nc_u32_e32 v2, 0x1000, v19
	v_lshlrev_b64 v[0:1], 2, v[17:18]
	v_add_nc_u32_e32 v7, 0x451, v3
	v_mov_b32_e32 v8, v4
	v_lshlrev_b64 v[5:6], 2, v[5:6]
	v_add_nc_u32_e32 v11, 0x4a6, v3
	v_mov_b32_e32 v12, v4
	ds_read2_b32 v[13:14], v2 offset0:166 offset1:251
	v_add_co_u32 v0, vcc_lo, v20, v0
	v_lshlrev_b64 v[7:8], 2, v[7:8]
	v_add_nc_u32_e32 v3, 0x4fb, v3
	v_add_co_ci_u32_e32 v1, vcc_lo, v21, v1, vcc_lo
	v_add_co_u32 v5, vcc_lo, v20, v5
	v_lshlrev_b64 v[11:12], 2, v[11:12]
	v_add_co_ci_u32_e32 v6, vcc_lo, v21, v6, vcc_lo
	v_add_co_u32 v7, vcc_lo, v20, v7
	v_lshlrev_b64 v[2:3], 2, v[3:4]
	v_add_co_ci_u32_e32 v8, vcc_lo, v21, v8, vcc_lo
	v_add_co_u32 v11, vcc_lo, v20, v11
	v_add_co_ci_u32_e32 v12, vcc_lo, v21, v12, vcc_lo
	v_add_co_u32 v2, vcc_lo, v20, v2
	v_add_co_ci_u32_e32 v3, vcc_lo, v21, v3, vcc_lo
	global_store_dword v[0:1], v16, off
	s_waitcnt lgkmcnt(1)
	global_store_dword v[5:6], v9, off
	global_store_dword v[7:8], v10, off
	s_waitcnt lgkmcnt(0)
	global_store_dword v[11:12], v13, off
	global_store_dword v[2:3], v14, off
.LBB0_26:
	s_endpgm
	.section	.rodata,"a",@progbits
	.p2align	6, 0x0
	.amdhsa_kernel fft_rtc_fwd_len1360_factors_17_5_16_wgs_255_tpt_85_halfLds_half_op_CI_CI_unitstride_sbrr_C2R_dirReg
		.amdhsa_group_segment_fixed_size 0
		.amdhsa_private_segment_fixed_size 0
		.amdhsa_kernarg_size 104
		.amdhsa_user_sgpr_count 6
		.amdhsa_user_sgpr_private_segment_buffer 1
		.amdhsa_user_sgpr_dispatch_ptr 0
		.amdhsa_user_sgpr_queue_ptr 0
		.amdhsa_user_sgpr_kernarg_segment_ptr 1
		.amdhsa_user_sgpr_dispatch_id 0
		.amdhsa_user_sgpr_flat_scratch_init 0
		.amdhsa_user_sgpr_private_segment_size 0
		.amdhsa_wavefront_size32 1
		.amdhsa_uses_dynamic_stack 0
		.amdhsa_system_sgpr_private_segment_wavefront_offset 0
		.amdhsa_system_sgpr_workgroup_id_x 1
		.amdhsa_system_sgpr_workgroup_id_y 0
		.amdhsa_system_sgpr_workgroup_id_z 0
		.amdhsa_system_sgpr_workgroup_info 0
		.amdhsa_system_vgpr_workitem_id 0
		.amdhsa_next_free_vgpr 182
		.amdhsa_next_free_sgpr 27
		.amdhsa_reserve_vcc 1
		.amdhsa_reserve_flat_scratch 0
		.amdhsa_float_round_mode_32 0
		.amdhsa_float_round_mode_16_64 0
		.amdhsa_float_denorm_mode_32 3
		.amdhsa_float_denorm_mode_16_64 3
		.amdhsa_dx10_clamp 1
		.amdhsa_ieee_mode 1
		.amdhsa_fp16_overflow 0
		.amdhsa_workgroup_processor_mode 1
		.amdhsa_memory_ordered 1
		.amdhsa_forward_progress 0
		.amdhsa_shared_vgpr_count 0
		.amdhsa_exception_fp_ieee_invalid_op 0
		.amdhsa_exception_fp_denorm_src 0
		.amdhsa_exception_fp_ieee_div_zero 0
		.amdhsa_exception_fp_ieee_overflow 0
		.amdhsa_exception_fp_ieee_underflow 0
		.amdhsa_exception_fp_ieee_inexact 0
		.amdhsa_exception_int_div_zero 0
	.end_amdhsa_kernel
	.text
.Lfunc_end0:
	.size	fft_rtc_fwd_len1360_factors_17_5_16_wgs_255_tpt_85_halfLds_half_op_CI_CI_unitstride_sbrr_C2R_dirReg, .Lfunc_end0-fft_rtc_fwd_len1360_factors_17_5_16_wgs_255_tpt_85_halfLds_half_op_CI_CI_unitstride_sbrr_C2R_dirReg
                                        ; -- End function
	.section	.AMDGPU.csdata,"",@progbits
; Kernel info:
; codeLenInByte = 13852
; NumSgprs: 29
; NumVgprs: 182
; ScratchSize: 0
; MemoryBound: 0
; FloatMode: 240
; IeeeMode: 1
; LDSByteSize: 0 bytes/workgroup (compile time only)
; SGPRBlocks: 3
; VGPRBlocks: 22
; NumSGPRsForWavesPerEU: 29
; NumVGPRsForWavesPerEU: 182
; Occupancy: 5
; WaveLimiterHint : 1
; COMPUTE_PGM_RSRC2:SCRATCH_EN: 0
; COMPUTE_PGM_RSRC2:USER_SGPR: 6
; COMPUTE_PGM_RSRC2:TRAP_HANDLER: 0
; COMPUTE_PGM_RSRC2:TGID_X_EN: 1
; COMPUTE_PGM_RSRC2:TGID_Y_EN: 0
; COMPUTE_PGM_RSRC2:TGID_Z_EN: 0
; COMPUTE_PGM_RSRC2:TIDIG_COMP_CNT: 0
	.text
	.p2alignl 6, 3214868480
	.fill 48, 4, 3214868480
	.type	__hip_cuid_8c61b0e441cd2f41,@object ; @__hip_cuid_8c61b0e441cd2f41
	.section	.bss,"aw",@nobits
	.globl	__hip_cuid_8c61b0e441cd2f41
__hip_cuid_8c61b0e441cd2f41:
	.byte	0                               ; 0x0
	.size	__hip_cuid_8c61b0e441cd2f41, 1

	.ident	"AMD clang version 19.0.0git (https://github.com/RadeonOpenCompute/llvm-project roc-6.4.0 25133 c7fe45cf4b819c5991fe208aaa96edf142730f1d)"
	.section	".note.GNU-stack","",@progbits
	.addrsig
	.addrsig_sym __hip_cuid_8c61b0e441cd2f41
	.amdgpu_metadata
---
amdhsa.kernels:
  - .args:
      - .actual_access:  read_only
        .address_space:  global
        .offset:         0
        .size:           8
        .value_kind:     global_buffer
      - .offset:         8
        .size:           8
        .value_kind:     by_value
      - .actual_access:  read_only
        .address_space:  global
        .offset:         16
        .size:           8
        .value_kind:     global_buffer
      - .actual_access:  read_only
        .address_space:  global
        .offset:         24
        .size:           8
        .value_kind:     global_buffer
      - .actual_access:  read_only
        .address_space:  global
        .offset:         32
        .size:           8
        .value_kind:     global_buffer
      - .offset:         40
        .size:           8
        .value_kind:     by_value
      - .actual_access:  read_only
        .address_space:  global
        .offset:         48
        .size:           8
        .value_kind:     global_buffer
      - .actual_access:  read_only
        .address_space:  global
        .offset:         56
        .size:           8
        .value_kind:     global_buffer
      - .offset:         64
        .size:           4
        .value_kind:     by_value
      - .actual_access:  read_only
        .address_space:  global
        .offset:         72
        .size:           8
        .value_kind:     global_buffer
      - .actual_access:  read_only
        .address_space:  global
        .offset:         80
        .size:           8
        .value_kind:     global_buffer
      - .actual_access:  read_only
        .address_space:  global
        .offset:         88
        .size:           8
        .value_kind:     global_buffer
      - .actual_access:  write_only
        .address_space:  global
        .offset:         96
        .size:           8
        .value_kind:     global_buffer
    .group_segment_fixed_size: 0
    .kernarg_segment_align: 8
    .kernarg_segment_size: 104
    .language:       OpenCL C
    .language_version:
      - 2
      - 0
    .max_flat_workgroup_size: 255
    .name:           fft_rtc_fwd_len1360_factors_17_5_16_wgs_255_tpt_85_halfLds_half_op_CI_CI_unitstride_sbrr_C2R_dirReg
    .private_segment_fixed_size: 0
    .sgpr_count:     29
    .sgpr_spill_count: 0
    .symbol:         fft_rtc_fwd_len1360_factors_17_5_16_wgs_255_tpt_85_halfLds_half_op_CI_CI_unitstride_sbrr_C2R_dirReg.kd
    .uniform_work_group_size: 1
    .uses_dynamic_stack: false
    .vgpr_count:     182
    .vgpr_spill_count: 0
    .wavefront_size: 32
    .workgroup_processor_mode: 1
amdhsa.target:   amdgcn-amd-amdhsa--gfx1030
amdhsa.version:
  - 1
  - 2
...

	.end_amdgpu_metadata
